;; amdgpu-corpus repo=ROCm/rocThrust kind=compiled arch=gfx1030 opt=O3
	.amdgcn_target "amdgcn-amd-amdhsa--gfx1030"
	.amdhsa_code_object_version 6
	.section	.text._ZN6thrust23THRUST_200600_302600_NS11hip_rocprim14__parallel_for6kernelILj256ENS1_20__uninitialized_fill7functorINS0_10device_ptrIiEEiEEmLj1EEEvT0_T1_SA_,"axG",@progbits,_ZN6thrust23THRUST_200600_302600_NS11hip_rocprim14__parallel_for6kernelILj256ENS1_20__uninitialized_fill7functorINS0_10device_ptrIiEEiEEmLj1EEEvT0_T1_SA_,comdat
	.protected	_ZN6thrust23THRUST_200600_302600_NS11hip_rocprim14__parallel_for6kernelILj256ENS1_20__uninitialized_fill7functorINS0_10device_ptrIiEEiEEmLj1EEEvT0_T1_SA_ ; -- Begin function _ZN6thrust23THRUST_200600_302600_NS11hip_rocprim14__parallel_for6kernelILj256ENS1_20__uninitialized_fill7functorINS0_10device_ptrIiEEiEEmLj1EEEvT0_T1_SA_
	.globl	_ZN6thrust23THRUST_200600_302600_NS11hip_rocprim14__parallel_for6kernelILj256ENS1_20__uninitialized_fill7functorINS0_10device_ptrIiEEiEEmLj1EEEvT0_T1_SA_
	.p2align	8
	.type	_ZN6thrust23THRUST_200600_302600_NS11hip_rocprim14__parallel_for6kernelILj256ENS1_20__uninitialized_fill7functorINS0_10device_ptrIiEEiEEmLj1EEEvT0_T1_SA_,@function
_ZN6thrust23THRUST_200600_302600_NS11hip_rocprim14__parallel_for6kernelILj256ENS1_20__uninitialized_fill7functorINS0_10device_ptrIiEEiEEmLj1EEEvT0_T1_SA_: ; @_ZN6thrust23THRUST_200600_302600_NS11hip_rocprim14__parallel_for6kernelILj256ENS1_20__uninitialized_fill7functorINS0_10device_ptrIiEEiEEmLj1EEEvT0_T1_SA_
; %bb.0:
	s_clause 0x2
	s_load_dwordx4 s[8:11], s[4:5], 0x10
	s_load_dwordx2 s[0:1], s[4:5], 0x0
	s_load_dword s7, s[4:5], 0x8
	s_lshl_b32 s2, s6, 8
	s_waitcnt lgkmcnt(0)
	s_add_u32 s2, s10, s2
	s_addc_u32 s3, s11, 0
	s_sub_u32 s4, s8, s2
	s_subb_u32 s5, s9, s3
	v_cmp_lt_u64_e64 s5, 0xff, s[4:5]
	s_and_b32 vcc_lo, exec_lo, s5
	s_mov_b32 s5, -1
	s_cbranch_vccz .LBB0_3
; %bb.1:
	s_andn2_b32 vcc_lo, exec_lo, s5
	s_cbranch_vccz .LBB0_6
.LBB0_2:
	s_endpgm
.LBB0_3:
	v_cmp_gt_u32_e32 vcc_lo, s4, v0
	s_and_saveexec_b32 s4, vcc_lo
	s_cbranch_execz .LBB0_5
; %bb.4:
	v_lshlrev_b32_e32 v1, 2, v0
	s_lshl_b64 s[8:9], s[2:3], 2
	v_mov_b32_e32 v3, s7
	s_add_u32 s5, s0, s8
	s_addc_u32 s6, s1, s9
	v_add_co_u32 v1, s5, s5, v1
	v_add_co_ci_u32_e64 v2, null, s6, 0, s5
	flat_store_dword v[1:2], v3
.LBB0_5:
	s_or_b32 exec_lo, exec_lo, s4
	s_cbranch_execnz .LBB0_2
.LBB0_6:
	v_lshlrev_b32_e32 v0, 2, v0
	s_lshl_b64 s[2:3], s[2:3], 2
	v_mov_b32_e32 v2, s7
	s_add_u32 s0, s0, s2
	s_addc_u32 s1, s1, s3
	v_add_co_u32 v0, s0, s0, v0
	v_add_co_ci_u32_e64 v1, null, s1, 0, s0
	flat_store_dword v[0:1], v2
	s_endpgm
	.section	.rodata,"a",@progbits
	.p2align	6, 0x0
	.amdhsa_kernel _ZN6thrust23THRUST_200600_302600_NS11hip_rocprim14__parallel_for6kernelILj256ENS1_20__uninitialized_fill7functorINS0_10device_ptrIiEEiEEmLj1EEEvT0_T1_SA_
		.amdhsa_group_segment_fixed_size 0
		.amdhsa_private_segment_fixed_size 0
		.amdhsa_kernarg_size 32
		.amdhsa_user_sgpr_count 6
		.amdhsa_user_sgpr_private_segment_buffer 1
		.amdhsa_user_sgpr_dispatch_ptr 0
		.amdhsa_user_sgpr_queue_ptr 0
		.amdhsa_user_sgpr_kernarg_segment_ptr 1
		.amdhsa_user_sgpr_dispatch_id 0
		.amdhsa_user_sgpr_flat_scratch_init 0
		.amdhsa_user_sgpr_private_segment_size 0
		.amdhsa_wavefront_size32 1
		.amdhsa_uses_dynamic_stack 0
		.amdhsa_system_sgpr_private_segment_wavefront_offset 0
		.amdhsa_system_sgpr_workgroup_id_x 1
		.amdhsa_system_sgpr_workgroup_id_y 0
		.amdhsa_system_sgpr_workgroup_id_z 0
		.amdhsa_system_sgpr_workgroup_info 0
		.amdhsa_system_vgpr_workitem_id 0
		.amdhsa_next_free_vgpr 4
		.amdhsa_next_free_sgpr 12
		.amdhsa_reserve_vcc 1
		.amdhsa_reserve_flat_scratch 0
		.amdhsa_float_round_mode_32 0
		.amdhsa_float_round_mode_16_64 0
		.amdhsa_float_denorm_mode_32 3
		.amdhsa_float_denorm_mode_16_64 3
		.amdhsa_dx10_clamp 1
		.amdhsa_ieee_mode 1
		.amdhsa_fp16_overflow 0
		.amdhsa_workgroup_processor_mode 1
		.amdhsa_memory_ordered 1
		.amdhsa_forward_progress 1
		.amdhsa_shared_vgpr_count 0
		.amdhsa_exception_fp_ieee_invalid_op 0
		.amdhsa_exception_fp_denorm_src 0
		.amdhsa_exception_fp_ieee_div_zero 0
		.amdhsa_exception_fp_ieee_overflow 0
		.amdhsa_exception_fp_ieee_underflow 0
		.amdhsa_exception_fp_ieee_inexact 0
		.amdhsa_exception_int_div_zero 0
	.end_amdhsa_kernel
	.section	.text._ZN6thrust23THRUST_200600_302600_NS11hip_rocprim14__parallel_for6kernelILj256ENS1_20__uninitialized_fill7functorINS0_10device_ptrIiEEiEEmLj1EEEvT0_T1_SA_,"axG",@progbits,_ZN6thrust23THRUST_200600_302600_NS11hip_rocprim14__parallel_for6kernelILj256ENS1_20__uninitialized_fill7functorINS0_10device_ptrIiEEiEEmLj1EEEvT0_T1_SA_,comdat
.Lfunc_end0:
	.size	_ZN6thrust23THRUST_200600_302600_NS11hip_rocprim14__parallel_for6kernelILj256ENS1_20__uninitialized_fill7functorINS0_10device_ptrIiEEiEEmLj1EEEvT0_T1_SA_, .Lfunc_end0-_ZN6thrust23THRUST_200600_302600_NS11hip_rocprim14__parallel_for6kernelILj256ENS1_20__uninitialized_fill7functorINS0_10device_ptrIiEEiEEmLj1EEEvT0_T1_SA_
                                        ; -- End function
	.set _ZN6thrust23THRUST_200600_302600_NS11hip_rocprim14__parallel_for6kernelILj256ENS1_20__uninitialized_fill7functorINS0_10device_ptrIiEEiEEmLj1EEEvT0_T1_SA_.num_vgpr, 4
	.set _ZN6thrust23THRUST_200600_302600_NS11hip_rocprim14__parallel_for6kernelILj256ENS1_20__uninitialized_fill7functorINS0_10device_ptrIiEEiEEmLj1EEEvT0_T1_SA_.num_agpr, 0
	.set _ZN6thrust23THRUST_200600_302600_NS11hip_rocprim14__parallel_for6kernelILj256ENS1_20__uninitialized_fill7functorINS0_10device_ptrIiEEiEEmLj1EEEvT0_T1_SA_.numbered_sgpr, 12
	.set _ZN6thrust23THRUST_200600_302600_NS11hip_rocprim14__parallel_for6kernelILj256ENS1_20__uninitialized_fill7functorINS0_10device_ptrIiEEiEEmLj1EEEvT0_T1_SA_.num_named_barrier, 0
	.set _ZN6thrust23THRUST_200600_302600_NS11hip_rocprim14__parallel_for6kernelILj256ENS1_20__uninitialized_fill7functorINS0_10device_ptrIiEEiEEmLj1EEEvT0_T1_SA_.private_seg_size, 0
	.set _ZN6thrust23THRUST_200600_302600_NS11hip_rocprim14__parallel_for6kernelILj256ENS1_20__uninitialized_fill7functorINS0_10device_ptrIiEEiEEmLj1EEEvT0_T1_SA_.uses_vcc, 1
	.set _ZN6thrust23THRUST_200600_302600_NS11hip_rocprim14__parallel_for6kernelILj256ENS1_20__uninitialized_fill7functorINS0_10device_ptrIiEEiEEmLj1EEEvT0_T1_SA_.uses_flat_scratch, 0
	.set _ZN6thrust23THRUST_200600_302600_NS11hip_rocprim14__parallel_for6kernelILj256ENS1_20__uninitialized_fill7functorINS0_10device_ptrIiEEiEEmLj1EEEvT0_T1_SA_.has_dyn_sized_stack, 0
	.set _ZN6thrust23THRUST_200600_302600_NS11hip_rocprim14__parallel_for6kernelILj256ENS1_20__uninitialized_fill7functorINS0_10device_ptrIiEEiEEmLj1EEEvT0_T1_SA_.has_recursion, 0
	.set _ZN6thrust23THRUST_200600_302600_NS11hip_rocprim14__parallel_for6kernelILj256ENS1_20__uninitialized_fill7functorINS0_10device_ptrIiEEiEEmLj1EEEvT0_T1_SA_.has_indirect_call, 0
	.section	.AMDGPU.csdata,"",@progbits
; Kernel info:
; codeLenInByte = 200
; TotalNumSgprs: 14
; NumVgprs: 4
; ScratchSize: 0
; MemoryBound: 0
; FloatMode: 240
; IeeeMode: 1
; LDSByteSize: 0 bytes/workgroup (compile time only)
; SGPRBlocks: 0
; VGPRBlocks: 0
; NumSGPRsForWavesPerEU: 14
; NumVGPRsForWavesPerEU: 4
; Occupancy: 16
; WaveLimiterHint : 0
; COMPUTE_PGM_RSRC2:SCRATCH_EN: 0
; COMPUTE_PGM_RSRC2:USER_SGPR: 6
; COMPUTE_PGM_RSRC2:TRAP_HANDLER: 0
; COMPUTE_PGM_RSRC2:TGID_X_EN: 1
; COMPUTE_PGM_RSRC2:TGID_Y_EN: 0
; COMPUTE_PGM_RSRC2:TGID_Z_EN: 0
; COMPUTE_PGM_RSRC2:TIDIG_COMP_CNT: 0
	.section	.text._ZN7rocprim17ROCPRIM_400000_NS6detail30init_device_scan_by_key_kernelINS1_19lookback_scan_stateINS0_5tupleIJibEEELb0ELb1EEEN6thrust23THRUST_200600_302600_NS18transform_iteratorI9row_indexNS8_17counting_iteratorImNS8_11use_defaultESC_SC_EESC_SC_EEjNS1_16block_id_wrapperIjLb0EEEEEvT_jjPNSH_10value_typeET0_PNSt15iterator_traitsISK_E10value_typeEmT1_T2_,"axG",@progbits,_ZN7rocprim17ROCPRIM_400000_NS6detail30init_device_scan_by_key_kernelINS1_19lookback_scan_stateINS0_5tupleIJibEEELb0ELb1EEEN6thrust23THRUST_200600_302600_NS18transform_iteratorI9row_indexNS8_17counting_iteratorImNS8_11use_defaultESC_SC_EESC_SC_EEjNS1_16block_id_wrapperIjLb0EEEEEvT_jjPNSH_10value_typeET0_PNSt15iterator_traitsISK_E10value_typeEmT1_T2_,comdat
	.protected	_ZN7rocprim17ROCPRIM_400000_NS6detail30init_device_scan_by_key_kernelINS1_19lookback_scan_stateINS0_5tupleIJibEEELb0ELb1EEEN6thrust23THRUST_200600_302600_NS18transform_iteratorI9row_indexNS8_17counting_iteratorImNS8_11use_defaultESC_SC_EESC_SC_EEjNS1_16block_id_wrapperIjLb0EEEEEvT_jjPNSH_10value_typeET0_PNSt15iterator_traitsISK_E10value_typeEmT1_T2_ ; -- Begin function _ZN7rocprim17ROCPRIM_400000_NS6detail30init_device_scan_by_key_kernelINS1_19lookback_scan_stateINS0_5tupleIJibEEELb0ELb1EEEN6thrust23THRUST_200600_302600_NS18transform_iteratorI9row_indexNS8_17counting_iteratorImNS8_11use_defaultESC_SC_EESC_SC_EEjNS1_16block_id_wrapperIjLb0EEEEEvT_jjPNSH_10value_typeET0_PNSt15iterator_traitsISK_E10value_typeEmT1_T2_
	.globl	_ZN7rocprim17ROCPRIM_400000_NS6detail30init_device_scan_by_key_kernelINS1_19lookback_scan_stateINS0_5tupleIJibEEELb0ELb1EEEN6thrust23THRUST_200600_302600_NS18transform_iteratorI9row_indexNS8_17counting_iteratorImNS8_11use_defaultESC_SC_EESC_SC_EEjNS1_16block_id_wrapperIjLb0EEEEEvT_jjPNSH_10value_typeET0_PNSt15iterator_traitsISK_E10value_typeEmT1_T2_
	.p2align	8
	.type	_ZN7rocprim17ROCPRIM_400000_NS6detail30init_device_scan_by_key_kernelINS1_19lookback_scan_stateINS0_5tupleIJibEEELb0ELb1EEEN6thrust23THRUST_200600_302600_NS18transform_iteratorI9row_indexNS8_17counting_iteratorImNS8_11use_defaultESC_SC_EESC_SC_EEjNS1_16block_id_wrapperIjLb0EEEEEvT_jjPNSH_10value_typeET0_PNSt15iterator_traitsISK_E10value_typeEmT1_T2_,@function
_ZN7rocprim17ROCPRIM_400000_NS6detail30init_device_scan_by_key_kernelINS1_19lookback_scan_stateINS0_5tupleIJibEEELb0ELb1EEEN6thrust23THRUST_200600_302600_NS18transform_iteratorI9row_indexNS8_17counting_iteratorImNS8_11use_defaultESC_SC_EESC_SC_EEjNS1_16block_id_wrapperIjLb0EEEEEvT_jjPNSH_10value_typeET0_PNSt15iterator_traitsISK_E10value_typeEmT1_T2_: ; @_ZN7rocprim17ROCPRIM_400000_NS6detail30init_device_scan_by_key_kernelINS1_19lookback_scan_stateINS0_5tupleIJibEEELb0ELb1EEEN6thrust23THRUST_200600_302600_NS18transform_iteratorI9row_indexNS8_17counting_iteratorImNS8_11use_defaultESC_SC_EESC_SC_EEjNS1_16block_id_wrapperIjLb0EEEEEvT_jjPNSH_10value_typeET0_PNSt15iterator_traitsISK_E10value_typeEmT1_T2_
; %bb.0:
	s_clause 0x2
	s_load_dword s0, s[4:5], 0x4c
	s_load_dwordx8 s[8:15], s[4:5], 0x0
	s_load_dword s7, s[4:5], 0x40
	s_waitcnt lgkmcnt(0)
	s_and_b32 s16, s0, 0xffff
	s_cmp_eq_u64 s[12:13], 0
	v_mad_u64_u32 v[4:5], null, s6, s16, v[0:1]
	s_cbranch_scc1 .LBB1_8
; %bb.1:
	s_cmp_lt_u32 s11, s10
	s_mov_b32 s1, 0
	s_cselect_b32 s0, s11, 0
	s_mov_b32 s2, exec_lo
	v_cmpx_eq_u32_e64 s0, v4
	s_cbranch_execz .LBB1_7
; %bb.2:
	s_add_i32 s0, s11, 32
	v_mov_b32_e32 v6, 0
	s_lshl_b64 s[0:1], s[0:1], 4
	s_mov_b32 s3, exec_lo
	s_add_u32 s0, s8, s0
	s_addc_u32 s1, s9, s1
	v_mov_b32_e32 v0, s0
	v_mov_b32_e32 v1, s1
	;;#ASMSTART
	global_load_dwordx4 v[0:3], v[0:1] off glc dlc	
s_waitcnt vmcnt(0)
	;;#ASMEND
	v_and_b32_e32 v5, 0xff, v2
	v_cmpx_eq_u64_e32 0, v[5:6]
	s_cbranch_execz .LBB1_6
; %bb.3:
	v_mov_b32_e32 v8, s1
	v_mov_b32_e32 v7, s0
	s_mov_b32 s0, 0
.LBB1_4:                                ; =>This Inner Loop Header: Depth=1
	;;#ASMSTART
	global_load_dwordx4 v[0:3], v[7:8] off glc dlc	
s_waitcnt vmcnt(0)
	;;#ASMEND
	v_and_b32_e32 v5, 0xff, v2
	v_cmp_ne_u64_e32 vcc_lo, 0, v[5:6]
	s_or_b32 s0, vcc_lo, s0
	s_andn2_b32 exec_lo, exec_lo, s0
	s_cbranch_execnz .LBB1_4
; %bb.5:
	s_or_b32 exec_lo, exec_lo, s0
.LBB1_6:
	s_or_b32 exec_lo, exec_lo, s3
	v_mov_b32_e32 v2, 0
	global_store_dword v2, v0, s[12:13]
	global_store_byte v2, v1, s[12:13] offset:4
.LBB1_7:
	s_or_b32 exec_lo, exec_lo, s2
.LBB1_8:
	s_mov_b32 s0, exec_lo
	v_cmpx_gt_u32_e64 s10, v4
	s_cbranch_execz .LBB1_10
; %bb.9:
	v_add_nc_u32_e32 v0, 32, v4
	v_mov_b32_e32 v1, 0
	v_lshlrev_b64 v[5:6], 4, v[0:1]
	v_mov_b32_e32 v0, v1
	v_mov_b32_e32 v2, v1
	;; [unrolled: 1-line block ×3, first 2 shown]
	v_add_co_u32 v5, vcc_lo, s8, v5
	v_add_co_ci_u32_e64 v6, null, s9, v6, vcc_lo
	global_store_dwordx4 v[5:6], v[0:3], off
.LBB1_10:
	s_or_b32 exec_lo, exec_lo, s0
	v_mov_b32_e32 v5, 0
	s_mov_b32 s0, exec_lo
	v_cmpx_gt_u32_e32 32, v4
	s_cbranch_execz .LBB1_12
; %bb.11:
	v_lshlrev_b64 v[6:7], 4, v[4:5]
	v_mov_b32_e32 v2, 0xff
	v_mov_b32_e32 v0, v5
	;; [unrolled: 1-line block ×4, first 2 shown]
	v_add_co_u32 v6, vcc_lo, s8, v6
	v_add_co_ci_u32_e64 v7, null, s9, v7, vcc_lo
	global_store_dwordx4 v[6:7], v[0:3], off
.LBB1_12:
	s_or_b32 exec_lo, exec_lo, s0
	s_load_dwordx2 s[2:3], s[4:5], 0x30
	s_mov_b32 s0, exec_lo
	s_waitcnt lgkmcnt(0)
	v_cmpx_gt_u64_e64 s[2:3], v[4:5]
	s_cbranch_execz .LBB1_19
; %bb.13:
	s_clause 0x1
	s_load_dwordx4 s[8:11], s[4:5], 0x20
	s_load_dword s6, s[4:5], 0x38
	s_mov_b32 s5, 0
	s_waitcnt lgkmcnt(0)
	v_cvt_f32_u32_e32 v0, s8
	v_cvt_f32_u32_e32 v1, s9
	;; [unrolled: 1-line block ×3, first 2 shown]
	s_add_i32 s0, s6, -1
	s_add_u32 s0, s0, s14
	v_fmamk_f32 v0, v1, 0x4f800000, v0
	v_rcp_iflag_f32_e32 v1, v2
	s_addc_u32 s1, 0, s15
	s_sub_i32 s4, 0, s8
	v_lshlrev_b64 v[2:3], 3, v[4:5]
	v_rcp_f32_e32 v0, v0
	v_add_co_u32 v2, vcc_lo, s10, v2
	v_mul_f32_e32 v1, 0x4f7ffffe, v1
	v_add_co_ci_u32_e64 v3, null, s11, v3, vcc_lo
	v_mul_f32_e32 v6, 0x5f7ffffc, v0
	v_cvt_u32_f32_e32 v1, v1
	v_mul_f32_e32 v0, 0x2f800000, v6
	v_mul_lo_u32 v7, s4, v1
	s_mul_i32 s4, s7, s16
	v_trunc_f32_e32 v8, v0
	v_mov_b32_e32 v0, 0
	s_mul_i32 s10, s6, s4
	v_mul_hi_u32 v9, v1, v7
	v_fmamk_f32 v10, v8, 0xcf800000, v6
	v_mad_u64_u32 v[6:7], null, s6, v4, s[0:1]
	v_cvt_u32_f32_e32 v11, v8
	s_mul_hi_u32 s1, s6, s4
	v_cvt_u32_f32_e32 v10, v10
	s_lshl_b64 s[6:7], s[4:5], 3
	v_add_nc_u32_e32 v12, v1, v9
	s_branch .LBB1_15
.LBB1_14:                               ;   in Loop: Header=BB1_15 Depth=1
	s_or_b32 exec_lo, exec_lo, s0
	v_add_co_u32 v4, vcc_lo, v4, s4
	v_add_co_ci_u32_e64 v5, null, 0, v5, vcc_lo
	v_add_co_u32 v6, vcc_lo, v6, s10
	v_add_co_ci_u32_e64 v7, null, s1, v7, vcc_lo
	v_cmp_le_u64_e32 vcc_lo, s[2:3], v[4:5]
	global_store_dwordx2 v[2:3], v[8:9], off
	v_add_co_u32 v2, s0, v2, s6
	v_add_co_ci_u32_e64 v3, null, s7, v3, s0
	s_or_b32 s5, vcc_lo, s5
	s_andn2_b32 exec_lo, exec_lo, s5
	s_cbranch_execz .LBB1_19
.LBB1_15:                               ; =>This Inner Loop Header: Depth=1
	v_or_b32_e32 v1, s9, v7
                                        ; implicit-def: $vgpr8_vgpr9
	s_mov_b32 s0, exec_lo
	v_cmpx_ne_u64_e32 0, v[0:1]
	s_xor_b32 s11, exec_lo, s0
	s_cbranch_execz .LBB1_17
; %bb.16:                               ;   in Loop: Header=BB1_15 Depth=1
	v_readfirstlane_b32 s0, v10
	v_readfirstlane_b32 s12, v11
	s_sub_u32 s13, 0, s8
	s_subb_u32 s14, 0, s9
	s_mul_hi_u32 s15, s13, s0
	s_mul_i32 s16, s13, s12
	s_mul_i32 s17, s14, s0
	s_add_i32 s15, s15, s16
	s_mul_i32 s16, s13, s0
	s_add_i32 s15, s15, s17
	s_mul_hi_u32 s17, s0, s16
	s_mul_i32 s18, s0, s15
	s_mul_hi_u32 s19, s0, s15
	s_add_u32 s17, s17, s18
	s_mul_i32 s20, s12, s16
	s_addc_u32 s18, 0, s19
	s_mul_hi_u32 s16, s12, s16
	s_mul_hi_u32 s19, s12, s15
	s_add_u32 s17, s17, s20
	s_addc_u32 s16, s18, s16
	s_mul_i32 s15, s12, s15
	s_addc_u32 s17, s19, 0
	s_add_u32 s15, s16, s15
	s_addc_u32 s16, 0, s17
	s_add_u32 s0, s0, s15
	s_cselect_b32 s15, -1, 0
	s_mul_i32 s14, s14, s0
	s_cmp_lg_u32 s15, 0
	s_addc_u32 s12, s12, s16
	s_mul_hi_u32 s16, s13, s0
	s_mul_i32 s15, s13, s12
	s_mul_i32 s13, s13, s0
	s_add_i32 s15, s16, s15
	s_mul_hi_u32 s16, s12, s13
	s_add_i32 s15, s15, s14
	s_mul_i32 s17, s12, s13
	s_mul_i32 s18, s0, s15
	s_mul_hi_u32 s13, s0, s13
	s_mul_hi_u32 s19, s0, s15
	s_add_u32 s13, s13, s18
	s_addc_u32 s18, 0, s19
	s_mul_hi_u32 s14, s12, s15
	s_add_u32 s13, s13, s17
	s_addc_u32 s13, s18, s16
	s_mul_i32 s15, s12, s15
	s_addc_u32 s14, s14, 0
	s_add_u32 s13, s13, s15
	s_addc_u32 s14, 0, s14
	s_add_u32 s0, s0, s13
	s_cselect_b32 s13, -1, 0
	v_mul_hi_u32 v1, v6, s0
	s_cmp_lg_u32 s13, 0
	v_mad_u64_u32 v[13:14], null, v7, s0, 0
	s_addc_u32 s12, s12, s14
	v_mad_u64_u32 v[8:9], null, v6, s12, 0
	v_add_co_u32 v1, vcc_lo, v1, v8
	v_add_co_ci_u32_e64 v15, null, 0, v9, vcc_lo
	v_mad_u64_u32 v[8:9], null, v7, s12, 0
	v_add_co_u32 v1, vcc_lo, v1, v13
	v_add_co_ci_u32_e32 v1, vcc_lo, v15, v14, vcc_lo
	v_add_co_ci_u32_e32 v9, vcc_lo, 0, v9, vcc_lo
	v_add_co_u32 v1, vcc_lo, v1, v8
	v_add_co_ci_u32_e64 v13, null, 0, v9, vcc_lo
	v_mul_lo_u32 v14, s9, v1
	v_mad_u64_u32 v[8:9], null, s8, v1, 0
	v_mul_lo_u32 v15, s8, v13
	v_sub_co_u32 v8, vcc_lo, v6, v8
	v_add3_u32 v9, v9, v15, v14
	v_add_co_u32 v15, s0, v1, 2
	v_add_co_ci_u32_e64 v16, null, 0, v13, s0
	v_sub_nc_u32_e32 v14, v7, v9
	v_sub_co_u32 v17, s0, v8, s8
	v_sub_co_ci_u32_e64 v9, null, v7, v9, vcc_lo
	v_subrev_co_ci_u32_e64 v14, null, s9, v14, vcc_lo
	v_cmp_le_u32_e32 vcc_lo, s8, v17
	v_subrev_co_ci_u32_e64 v14, null, 0, v14, s0
	v_cndmask_b32_e64 v17, 0, -1, vcc_lo
	v_cmp_eq_u32_e64 s0, s9, v9
	v_cmp_le_u32_e32 vcc_lo, s9, v14
	v_cndmask_b32_e64 v18, 0, -1, vcc_lo
	v_cmp_le_u32_e32 vcc_lo, s8, v8
	v_cndmask_b32_e64 v8, 0, -1, vcc_lo
	;; [unrolled: 2-line block ×3, first 2 shown]
	v_cmp_eq_u32_e32 vcc_lo, s9, v14
	v_cndmask_b32_e64 v8, v19, v8, s0
	v_cndmask_b32_e32 v14, v18, v17, vcc_lo
	v_add_co_u32 v17, vcc_lo, v1, 1
	v_add_co_ci_u32_e64 v18, null, 0, v13, vcc_lo
	v_cmp_ne_u32_e32 vcc_lo, 0, v14
	v_cndmask_b32_e32 v9, v18, v16, vcc_lo
	v_cndmask_b32_e32 v14, v17, v15, vcc_lo
	v_cmp_ne_u32_e32 vcc_lo, 0, v8
	v_cndmask_b32_e32 v9, v13, v9, vcc_lo
	v_cndmask_b32_e32 v8, v1, v14, vcc_lo
.LBB1_17:                               ;   in Loop: Header=BB1_15 Depth=1
	s_andn2_saveexec_b32 s0, s11
	s_cbranch_execz .LBB1_14
; %bb.18:                               ;   in Loop: Header=BB1_15 Depth=1
	v_mul_hi_u32 v1, v6, v12
	v_mul_lo_u32 v8, v1, s8
	v_add_nc_u32_e32 v9, 1, v1
	v_sub_nc_u32_e32 v8, v6, v8
	v_subrev_nc_u32_e32 v13, s8, v8
	v_cmp_le_u32_e32 vcc_lo, s8, v8
	v_cndmask_b32_e32 v8, v8, v13, vcc_lo
	v_cndmask_b32_e32 v1, v1, v9, vcc_lo
	v_cmp_le_u32_e32 vcc_lo, s8, v8
	v_add_nc_u32_e32 v9, 1, v1
	v_cndmask_b32_e32 v8, v1, v9, vcc_lo
	v_mov_b32_e32 v9, v0
	s_branch .LBB1_14
.LBB1_19:
	s_endpgm
	.section	.rodata,"a",@progbits
	.p2align	6, 0x0
	.amdhsa_kernel _ZN7rocprim17ROCPRIM_400000_NS6detail30init_device_scan_by_key_kernelINS1_19lookback_scan_stateINS0_5tupleIJibEEELb0ELb1EEEN6thrust23THRUST_200600_302600_NS18transform_iteratorI9row_indexNS8_17counting_iteratorImNS8_11use_defaultESC_SC_EESC_SC_EEjNS1_16block_id_wrapperIjLb0EEEEEvT_jjPNSH_10value_typeET0_PNSt15iterator_traitsISK_E10value_typeEmT1_T2_
		.amdhsa_group_segment_fixed_size 0
		.amdhsa_private_segment_fixed_size 0
		.amdhsa_kernarg_size 320
		.amdhsa_user_sgpr_count 6
		.amdhsa_user_sgpr_private_segment_buffer 1
		.amdhsa_user_sgpr_dispatch_ptr 0
		.amdhsa_user_sgpr_queue_ptr 0
		.amdhsa_user_sgpr_kernarg_segment_ptr 1
		.amdhsa_user_sgpr_dispatch_id 0
		.amdhsa_user_sgpr_flat_scratch_init 0
		.amdhsa_user_sgpr_private_segment_size 0
		.amdhsa_wavefront_size32 1
		.amdhsa_uses_dynamic_stack 0
		.amdhsa_system_sgpr_private_segment_wavefront_offset 0
		.amdhsa_system_sgpr_workgroup_id_x 1
		.amdhsa_system_sgpr_workgroup_id_y 0
		.amdhsa_system_sgpr_workgroup_id_z 0
		.amdhsa_system_sgpr_workgroup_info 0
		.amdhsa_system_vgpr_workitem_id 0
		.amdhsa_next_free_vgpr 20
		.amdhsa_next_free_sgpr 21
		.amdhsa_reserve_vcc 1
		.amdhsa_reserve_flat_scratch 0
		.amdhsa_float_round_mode_32 0
		.amdhsa_float_round_mode_16_64 0
		.amdhsa_float_denorm_mode_32 3
		.amdhsa_float_denorm_mode_16_64 3
		.amdhsa_dx10_clamp 1
		.amdhsa_ieee_mode 1
		.amdhsa_fp16_overflow 0
		.amdhsa_workgroup_processor_mode 1
		.amdhsa_memory_ordered 1
		.amdhsa_forward_progress 1
		.amdhsa_shared_vgpr_count 0
		.amdhsa_exception_fp_ieee_invalid_op 0
		.amdhsa_exception_fp_denorm_src 0
		.amdhsa_exception_fp_ieee_div_zero 0
		.amdhsa_exception_fp_ieee_overflow 0
		.amdhsa_exception_fp_ieee_underflow 0
		.amdhsa_exception_fp_ieee_inexact 0
		.amdhsa_exception_int_div_zero 0
	.end_amdhsa_kernel
	.section	.text._ZN7rocprim17ROCPRIM_400000_NS6detail30init_device_scan_by_key_kernelINS1_19lookback_scan_stateINS0_5tupleIJibEEELb0ELb1EEEN6thrust23THRUST_200600_302600_NS18transform_iteratorI9row_indexNS8_17counting_iteratorImNS8_11use_defaultESC_SC_EESC_SC_EEjNS1_16block_id_wrapperIjLb0EEEEEvT_jjPNSH_10value_typeET0_PNSt15iterator_traitsISK_E10value_typeEmT1_T2_,"axG",@progbits,_ZN7rocprim17ROCPRIM_400000_NS6detail30init_device_scan_by_key_kernelINS1_19lookback_scan_stateINS0_5tupleIJibEEELb0ELb1EEEN6thrust23THRUST_200600_302600_NS18transform_iteratorI9row_indexNS8_17counting_iteratorImNS8_11use_defaultESC_SC_EESC_SC_EEjNS1_16block_id_wrapperIjLb0EEEEEvT_jjPNSH_10value_typeET0_PNSt15iterator_traitsISK_E10value_typeEmT1_T2_,comdat
.Lfunc_end1:
	.size	_ZN7rocprim17ROCPRIM_400000_NS6detail30init_device_scan_by_key_kernelINS1_19lookback_scan_stateINS0_5tupleIJibEEELb0ELb1EEEN6thrust23THRUST_200600_302600_NS18transform_iteratorI9row_indexNS8_17counting_iteratorImNS8_11use_defaultESC_SC_EESC_SC_EEjNS1_16block_id_wrapperIjLb0EEEEEvT_jjPNSH_10value_typeET0_PNSt15iterator_traitsISK_E10value_typeEmT1_T2_, .Lfunc_end1-_ZN7rocprim17ROCPRIM_400000_NS6detail30init_device_scan_by_key_kernelINS1_19lookback_scan_stateINS0_5tupleIJibEEELb0ELb1EEEN6thrust23THRUST_200600_302600_NS18transform_iteratorI9row_indexNS8_17counting_iteratorImNS8_11use_defaultESC_SC_EESC_SC_EEjNS1_16block_id_wrapperIjLb0EEEEEvT_jjPNSH_10value_typeET0_PNSt15iterator_traitsISK_E10value_typeEmT1_T2_
                                        ; -- End function
	.set _ZN7rocprim17ROCPRIM_400000_NS6detail30init_device_scan_by_key_kernelINS1_19lookback_scan_stateINS0_5tupleIJibEEELb0ELb1EEEN6thrust23THRUST_200600_302600_NS18transform_iteratorI9row_indexNS8_17counting_iteratorImNS8_11use_defaultESC_SC_EESC_SC_EEjNS1_16block_id_wrapperIjLb0EEEEEvT_jjPNSH_10value_typeET0_PNSt15iterator_traitsISK_E10value_typeEmT1_T2_.num_vgpr, 20
	.set _ZN7rocprim17ROCPRIM_400000_NS6detail30init_device_scan_by_key_kernelINS1_19lookback_scan_stateINS0_5tupleIJibEEELb0ELb1EEEN6thrust23THRUST_200600_302600_NS18transform_iteratorI9row_indexNS8_17counting_iteratorImNS8_11use_defaultESC_SC_EESC_SC_EEjNS1_16block_id_wrapperIjLb0EEEEEvT_jjPNSH_10value_typeET0_PNSt15iterator_traitsISK_E10value_typeEmT1_T2_.num_agpr, 0
	.set _ZN7rocprim17ROCPRIM_400000_NS6detail30init_device_scan_by_key_kernelINS1_19lookback_scan_stateINS0_5tupleIJibEEELb0ELb1EEEN6thrust23THRUST_200600_302600_NS18transform_iteratorI9row_indexNS8_17counting_iteratorImNS8_11use_defaultESC_SC_EESC_SC_EEjNS1_16block_id_wrapperIjLb0EEEEEvT_jjPNSH_10value_typeET0_PNSt15iterator_traitsISK_E10value_typeEmT1_T2_.numbered_sgpr, 21
	.set _ZN7rocprim17ROCPRIM_400000_NS6detail30init_device_scan_by_key_kernelINS1_19lookback_scan_stateINS0_5tupleIJibEEELb0ELb1EEEN6thrust23THRUST_200600_302600_NS18transform_iteratorI9row_indexNS8_17counting_iteratorImNS8_11use_defaultESC_SC_EESC_SC_EEjNS1_16block_id_wrapperIjLb0EEEEEvT_jjPNSH_10value_typeET0_PNSt15iterator_traitsISK_E10value_typeEmT1_T2_.num_named_barrier, 0
	.set _ZN7rocprim17ROCPRIM_400000_NS6detail30init_device_scan_by_key_kernelINS1_19lookback_scan_stateINS0_5tupleIJibEEELb0ELb1EEEN6thrust23THRUST_200600_302600_NS18transform_iteratorI9row_indexNS8_17counting_iteratorImNS8_11use_defaultESC_SC_EESC_SC_EEjNS1_16block_id_wrapperIjLb0EEEEEvT_jjPNSH_10value_typeET0_PNSt15iterator_traitsISK_E10value_typeEmT1_T2_.private_seg_size, 0
	.set _ZN7rocprim17ROCPRIM_400000_NS6detail30init_device_scan_by_key_kernelINS1_19lookback_scan_stateINS0_5tupleIJibEEELb0ELb1EEEN6thrust23THRUST_200600_302600_NS18transform_iteratorI9row_indexNS8_17counting_iteratorImNS8_11use_defaultESC_SC_EESC_SC_EEjNS1_16block_id_wrapperIjLb0EEEEEvT_jjPNSH_10value_typeET0_PNSt15iterator_traitsISK_E10value_typeEmT1_T2_.uses_vcc, 1
	.set _ZN7rocprim17ROCPRIM_400000_NS6detail30init_device_scan_by_key_kernelINS1_19lookback_scan_stateINS0_5tupleIJibEEELb0ELb1EEEN6thrust23THRUST_200600_302600_NS18transform_iteratorI9row_indexNS8_17counting_iteratorImNS8_11use_defaultESC_SC_EESC_SC_EEjNS1_16block_id_wrapperIjLb0EEEEEvT_jjPNSH_10value_typeET0_PNSt15iterator_traitsISK_E10value_typeEmT1_T2_.uses_flat_scratch, 0
	.set _ZN7rocprim17ROCPRIM_400000_NS6detail30init_device_scan_by_key_kernelINS1_19lookback_scan_stateINS0_5tupleIJibEEELb0ELb1EEEN6thrust23THRUST_200600_302600_NS18transform_iteratorI9row_indexNS8_17counting_iteratorImNS8_11use_defaultESC_SC_EESC_SC_EEjNS1_16block_id_wrapperIjLb0EEEEEvT_jjPNSH_10value_typeET0_PNSt15iterator_traitsISK_E10value_typeEmT1_T2_.has_dyn_sized_stack, 0
	.set _ZN7rocprim17ROCPRIM_400000_NS6detail30init_device_scan_by_key_kernelINS1_19lookback_scan_stateINS0_5tupleIJibEEELb0ELb1EEEN6thrust23THRUST_200600_302600_NS18transform_iteratorI9row_indexNS8_17counting_iteratorImNS8_11use_defaultESC_SC_EESC_SC_EEjNS1_16block_id_wrapperIjLb0EEEEEvT_jjPNSH_10value_typeET0_PNSt15iterator_traitsISK_E10value_typeEmT1_T2_.has_recursion, 0
	.set _ZN7rocprim17ROCPRIM_400000_NS6detail30init_device_scan_by_key_kernelINS1_19lookback_scan_stateINS0_5tupleIJibEEELb0ELb1EEEN6thrust23THRUST_200600_302600_NS18transform_iteratorI9row_indexNS8_17counting_iteratorImNS8_11use_defaultESC_SC_EESC_SC_EEjNS1_16block_id_wrapperIjLb0EEEEEvT_jjPNSH_10value_typeET0_PNSt15iterator_traitsISK_E10value_typeEmT1_T2_.has_indirect_call, 0
	.section	.AMDGPU.csdata,"",@progbits
; Kernel info:
; codeLenInByte = 1308
; TotalNumSgprs: 23
; NumVgprs: 20
; ScratchSize: 0
; MemoryBound: 0
; FloatMode: 240
; IeeeMode: 1
; LDSByteSize: 0 bytes/workgroup (compile time only)
; SGPRBlocks: 0
; VGPRBlocks: 2
; NumSGPRsForWavesPerEU: 23
; NumVGPRsForWavesPerEU: 20
; Occupancy: 16
; WaveLimiterHint : 0
; COMPUTE_PGM_RSRC2:SCRATCH_EN: 0
; COMPUTE_PGM_RSRC2:USER_SGPR: 6
; COMPUTE_PGM_RSRC2:TRAP_HANDLER: 0
; COMPUTE_PGM_RSRC2:TGID_X_EN: 1
; COMPUTE_PGM_RSRC2:TGID_Y_EN: 0
; COMPUTE_PGM_RSRC2:TGID_Z_EN: 0
; COMPUTE_PGM_RSRC2:TIDIG_COMP_CNT: 0
	.section	.text._ZN7rocprim17ROCPRIM_400000_NS6detail30init_device_scan_by_key_kernelINS1_19lookback_scan_stateINS0_5tupleIJibEEELb0ELb1EEENS1_16block_id_wrapperIjLb0EEEEEvT_jjPNS9_10value_typeET0_,"axG",@progbits,_ZN7rocprim17ROCPRIM_400000_NS6detail30init_device_scan_by_key_kernelINS1_19lookback_scan_stateINS0_5tupleIJibEEELb0ELb1EEENS1_16block_id_wrapperIjLb0EEEEEvT_jjPNS9_10value_typeET0_,comdat
	.protected	_ZN7rocprim17ROCPRIM_400000_NS6detail30init_device_scan_by_key_kernelINS1_19lookback_scan_stateINS0_5tupleIJibEEELb0ELb1EEENS1_16block_id_wrapperIjLb0EEEEEvT_jjPNS9_10value_typeET0_ ; -- Begin function _ZN7rocprim17ROCPRIM_400000_NS6detail30init_device_scan_by_key_kernelINS1_19lookback_scan_stateINS0_5tupleIJibEEELb0ELb1EEENS1_16block_id_wrapperIjLb0EEEEEvT_jjPNS9_10value_typeET0_
	.globl	_ZN7rocprim17ROCPRIM_400000_NS6detail30init_device_scan_by_key_kernelINS1_19lookback_scan_stateINS0_5tupleIJibEEELb0ELb1EEENS1_16block_id_wrapperIjLb0EEEEEvT_jjPNS9_10value_typeET0_
	.p2align	8
	.type	_ZN7rocprim17ROCPRIM_400000_NS6detail30init_device_scan_by_key_kernelINS1_19lookback_scan_stateINS0_5tupleIJibEEELb0ELb1EEENS1_16block_id_wrapperIjLb0EEEEEvT_jjPNS9_10value_typeET0_,@function
_ZN7rocprim17ROCPRIM_400000_NS6detail30init_device_scan_by_key_kernelINS1_19lookback_scan_stateINS0_5tupleIJibEEELb0ELb1EEENS1_16block_id_wrapperIjLb0EEEEEvT_jjPNS9_10value_typeET0_: ; @_ZN7rocprim17ROCPRIM_400000_NS6detail30init_device_scan_by_key_kernelINS1_19lookback_scan_stateINS0_5tupleIJibEEELb0ELb1EEENS1_16block_id_wrapperIjLb0EEEEEvT_jjPNS9_10value_typeET0_
; %bb.0:
	s_clause 0x2
	s_load_dword s7, s[4:5], 0x2c
	s_load_dwordx2 s[8:9], s[4:5], 0x10
	s_load_dwordx4 s[0:3], s[4:5], 0x0
	s_waitcnt lgkmcnt(0)
	s_and_b32 s4, s7, 0xffff
	s_cmp_eq_u64 s[8:9], 0
	v_mad_u64_u32 v[0:1], null, s6, s4, v[0:1]
	s_cbranch_scc1 .LBB2_8
; %bb.1:
	s_cmp_lt_u32 s3, s2
	s_mov_b32 s5, 0
	s_cselect_b32 s4, s3, 0
	s_mov_b32 s6, exec_lo
	v_cmpx_eq_u32_e64 s4, v0
	s_cbranch_execz .LBB2_7
; %bb.2:
	s_add_i32 s4, s3, 32
	v_mov_b32_e32 v5, 0
	s_lshl_b64 s[4:5], s[4:5], 4
	s_mov_b32 s3, exec_lo
	s_add_u32 s4, s0, s4
	s_addc_u32 s5, s1, s5
	v_mov_b32_e32 v1, s4
	v_mov_b32_e32 v2, s5
	;;#ASMSTART
	global_load_dwordx4 v[1:4], v[1:2] off glc dlc	
s_waitcnt vmcnt(0)
	;;#ASMEND
	v_and_b32_e32 v4, 0xff, v3
	v_cmpx_eq_u64_e32 0, v[4:5]
	s_cbranch_execz .LBB2_6
; %bb.3:
	v_mov_b32_e32 v7, s5
	v_mov_b32_e32 v6, s4
	s_mov_b32 s4, 0
.LBB2_4:                                ; =>This Inner Loop Header: Depth=1
	;;#ASMSTART
	global_load_dwordx4 v[1:4], v[6:7] off glc dlc	
s_waitcnt vmcnt(0)
	;;#ASMEND
	v_and_b32_e32 v4, 0xff, v3
	v_cmp_ne_u64_e32 vcc_lo, 0, v[4:5]
	s_or_b32 s4, vcc_lo, s4
	s_andn2_b32 exec_lo, exec_lo, s4
	s_cbranch_execnz .LBB2_4
; %bb.5:
	s_or_b32 exec_lo, exec_lo, s4
.LBB2_6:
	s_or_b32 exec_lo, exec_lo, s3
	v_mov_b32_e32 v3, 0
	global_store_dword v3, v1, s[8:9]
	global_store_byte v3, v2, s[8:9] offset:4
.LBB2_7:
	s_or_b32 exec_lo, exec_lo, s6
.LBB2_8:
	v_cmp_gt_u32_e32 vcc_lo, s2, v0
	s_and_saveexec_b32 s2, vcc_lo
	s_cbranch_execz .LBB2_10
; %bb.9:
	v_add_nc_u32_e32 v1, 32, v0
	v_mov_b32_e32 v2, 0
	v_lshlrev_b64 v[4:5], 4, v[1:2]
	v_mov_b32_e32 v1, v2
	v_mov_b32_e32 v3, v2
	v_add_co_u32 v6, vcc_lo, s0, v4
	v_add_co_ci_u32_e64 v7, null, s1, v5, vcc_lo
	v_mov_b32_e32 v4, v2
	global_store_dwordx4 v[6:7], v[1:4], off
.LBB2_10:
	s_or_b32 exec_lo, exec_lo, s2
	s_mov_b32 s2, exec_lo
	v_cmpx_gt_u32_e32 32, v0
	s_cbranch_execz .LBB2_12
; %bb.11:
	v_mov_b32_e32 v1, 0
	v_mov_b32_e32 v2, 0xff
	v_lshlrev_b64 v[3:4], 4, v[0:1]
	v_mov_b32_e32 v0, v1
	v_add_co_u32 v5, vcc_lo, s0, v3
	v_add_co_ci_u32_e64 v6, null, s1, v4, vcc_lo
	v_mov_b32_e32 v3, v1
	global_store_dwordx4 v[5:6], v[0:3], off
.LBB2_12:
	s_endpgm
	.section	.rodata,"a",@progbits
	.p2align	6, 0x0
	.amdhsa_kernel _ZN7rocprim17ROCPRIM_400000_NS6detail30init_device_scan_by_key_kernelINS1_19lookback_scan_stateINS0_5tupleIJibEEELb0ELb1EEENS1_16block_id_wrapperIjLb0EEEEEvT_jjPNS9_10value_typeET0_
		.amdhsa_group_segment_fixed_size 0
		.amdhsa_private_segment_fixed_size 0
		.amdhsa_kernarg_size 288
		.amdhsa_user_sgpr_count 6
		.amdhsa_user_sgpr_private_segment_buffer 1
		.amdhsa_user_sgpr_dispatch_ptr 0
		.amdhsa_user_sgpr_queue_ptr 0
		.amdhsa_user_sgpr_kernarg_segment_ptr 1
		.amdhsa_user_sgpr_dispatch_id 0
		.amdhsa_user_sgpr_flat_scratch_init 0
		.amdhsa_user_sgpr_private_segment_size 0
		.amdhsa_wavefront_size32 1
		.amdhsa_uses_dynamic_stack 0
		.amdhsa_system_sgpr_private_segment_wavefront_offset 0
		.amdhsa_system_sgpr_workgroup_id_x 1
		.amdhsa_system_sgpr_workgroup_id_y 0
		.amdhsa_system_sgpr_workgroup_id_z 0
		.amdhsa_system_sgpr_workgroup_info 0
		.amdhsa_system_vgpr_workitem_id 0
		.amdhsa_next_free_vgpr 8
		.amdhsa_next_free_sgpr 10
		.amdhsa_reserve_vcc 1
		.amdhsa_reserve_flat_scratch 0
		.amdhsa_float_round_mode_32 0
		.amdhsa_float_round_mode_16_64 0
		.amdhsa_float_denorm_mode_32 3
		.amdhsa_float_denorm_mode_16_64 3
		.amdhsa_dx10_clamp 1
		.amdhsa_ieee_mode 1
		.amdhsa_fp16_overflow 0
		.amdhsa_workgroup_processor_mode 1
		.amdhsa_memory_ordered 1
		.amdhsa_forward_progress 1
		.amdhsa_shared_vgpr_count 0
		.amdhsa_exception_fp_ieee_invalid_op 0
		.amdhsa_exception_fp_denorm_src 0
		.amdhsa_exception_fp_ieee_div_zero 0
		.amdhsa_exception_fp_ieee_overflow 0
		.amdhsa_exception_fp_ieee_underflow 0
		.amdhsa_exception_fp_ieee_inexact 0
		.amdhsa_exception_int_div_zero 0
	.end_amdhsa_kernel
	.section	.text._ZN7rocprim17ROCPRIM_400000_NS6detail30init_device_scan_by_key_kernelINS1_19lookback_scan_stateINS0_5tupleIJibEEELb0ELb1EEENS1_16block_id_wrapperIjLb0EEEEEvT_jjPNS9_10value_typeET0_,"axG",@progbits,_ZN7rocprim17ROCPRIM_400000_NS6detail30init_device_scan_by_key_kernelINS1_19lookback_scan_stateINS0_5tupleIJibEEELb0ELb1EEENS1_16block_id_wrapperIjLb0EEEEEvT_jjPNS9_10value_typeET0_,comdat
.Lfunc_end2:
	.size	_ZN7rocprim17ROCPRIM_400000_NS6detail30init_device_scan_by_key_kernelINS1_19lookback_scan_stateINS0_5tupleIJibEEELb0ELb1EEENS1_16block_id_wrapperIjLb0EEEEEvT_jjPNS9_10value_typeET0_, .Lfunc_end2-_ZN7rocprim17ROCPRIM_400000_NS6detail30init_device_scan_by_key_kernelINS1_19lookback_scan_stateINS0_5tupleIJibEEELb0ELb1EEENS1_16block_id_wrapperIjLb0EEEEEvT_jjPNS9_10value_typeET0_
                                        ; -- End function
	.set _ZN7rocprim17ROCPRIM_400000_NS6detail30init_device_scan_by_key_kernelINS1_19lookback_scan_stateINS0_5tupleIJibEEELb0ELb1EEENS1_16block_id_wrapperIjLb0EEEEEvT_jjPNS9_10value_typeET0_.num_vgpr, 8
	.set _ZN7rocprim17ROCPRIM_400000_NS6detail30init_device_scan_by_key_kernelINS1_19lookback_scan_stateINS0_5tupleIJibEEELb0ELb1EEENS1_16block_id_wrapperIjLb0EEEEEvT_jjPNS9_10value_typeET0_.num_agpr, 0
	.set _ZN7rocprim17ROCPRIM_400000_NS6detail30init_device_scan_by_key_kernelINS1_19lookback_scan_stateINS0_5tupleIJibEEELb0ELb1EEENS1_16block_id_wrapperIjLb0EEEEEvT_jjPNS9_10value_typeET0_.numbered_sgpr, 10
	.set _ZN7rocprim17ROCPRIM_400000_NS6detail30init_device_scan_by_key_kernelINS1_19lookback_scan_stateINS0_5tupleIJibEEELb0ELb1EEENS1_16block_id_wrapperIjLb0EEEEEvT_jjPNS9_10value_typeET0_.num_named_barrier, 0
	.set _ZN7rocprim17ROCPRIM_400000_NS6detail30init_device_scan_by_key_kernelINS1_19lookback_scan_stateINS0_5tupleIJibEEELb0ELb1EEENS1_16block_id_wrapperIjLb0EEEEEvT_jjPNS9_10value_typeET0_.private_seg_size, 0
	.set _ZN7rocprim17ROCPRIM_400000_NS6detail30init_device_scan_by_key_kernelINS1_19lookback_scan_stateINS0_5tupleIJibEEELb0ELb1EEENS1_16block_id_wrapperIjLb0EEEEEvT_jjPNS9_10value_typeET0_.uses_vcc, 1
	.set _ZN7rocprim17ROCPRIM_400000_NS6detail30init_device_scan_by_key_kernelINS1_19lookback_scan_stateINS0_5tupleIJibEEELb0ELb1EEENS1_16block_id_wrapperIjLb0EEEEEvT_jjPNS9_10value_typeET0_.uses_flat_scratch, 0
	.set _ZN7rocprim17ROCPRIM_400000_NS6detail30init_device_scan_by_key_kernelINS1_19lookback_scan_stateINS0_5tupleIJibEEELb0ELb1EEENS1_16block_id_wrapperIjLb0EEEEEvT_jjPNS9_10value_typeET0_.has_dyn_sized_stack, 0
	.set _ZN7rocprim17ROCPRIM_400000_NS6detail30init_device_scan_by_key_kernelINS1_19lookback_scan_stateINS0_5tupleIJibEEELb0ELb1EEENS1_16block_id_wrapperIjLb0EEEEEvT_jjPNS9_10value_typeET0_.has_recursion, 0
	.set _ZN7rocprim17ROCPRIM_400000_NS6detail30init_device_scan_by_key_kernelINS1_19lookback_scan_stateINS0_5tupleIJibEEELb0ELb1EEENS1_16block_id_wrapperIjLb0EEEEEvT_jjPNS9_10value_typeET0_.has_indirect_call, 0
	.section	.AMDGPU.csdata,"",@progbits
; Kernel info:
; codeLenInByte = 416
; TotalNumSgprs: 12
; NumVgprs: 8
; ScratchSize: 0
; MemoryBound: 0
; FloatMode: 240
; IeeeMode: 1
; LDSByteSize: 0 bytes/workgroup (compile time only)
; SGPRBlocks: 0
; VGPRBlocks: 0
; NumSGPRsForWavesPerEU: 12
; NumVGPRsForWavesPerEU: 8
; Occupancy: 16
; WaveLimiterHint : 0
; COMPUTE_PGM_RSRC2:SCRATCH_EN: 0
; COMPUTE_PGM_RSRC2:USER_SGPR: 6
; COMPUTE_PGM_RSRC2:TRAP_HANDLER: 0
; COMPUTE_PGM_RSRC2:TGID_X_EN: 1
; COMPUTE_PGM_RSRC2:TGID_Y_EN: 0
; COMPUTE_PGM_RSRC2:TGID_Z_EN: 0
; COMPUTE_PGM_RSRC2:TIDIG_COMP_CNT: 0
	.section	.text._ZN7rocprim17ROCPRIM_400000_NS6detail17trampoline_kernelINS0_14default_configENS1_27scan_by_key_config_selectorImiEEZZNS1_16scan_by_key_implILNS1_25lookback_scan_determinismE0ELb0ES3_N6thrust23THRUST_200600_302600_NS18transform_iteratorI9row_indexNS9_17counting_iteratorImNS9_11use_defaultESD_SD_EESD_SD_EENS9_6detail15normal_iteratorINS9_10device_ptrIiEEEESK_iNS9_4plusIvEENS9_8equal_toIvEEiEE10hipError_tPvRmT2_T3_T4_T5_mT6_T7_P12ihipStream_tbENKUlT_T0_E_clISt17integral_constantIbLb0EES15_EEDaS10_S11_EUlS10_E_NS1_11comp_targetILNS1_3genE0ELNS1_11target_archE4294967295ELNS1_3gpuE0ELNS1_3repE0EEENS1_30default_config_static_selectorELNS0_4arch9wavefront6targetE0EEEvT1_,"axG",@progbits,_ZN7rocprim17ROCPRIM_400000_NS6detail17trampoline_kernelINS0_14default_configENS1_27scan_by_key_config_selectorImiEEZZNS1_16scan_by_key_implILNS1_25lookback_scan_determinismE0ELb0ES3_N6thrust23THRUST_200600_302600_NS18transform_iteratorI9row_indexNS9_17counting_iteratorImNS9_11use_defaultESD_SD_EESD_SD_EENS9_6detail15normal_iteratorINS9_10device_ptrIiEEEESK_iNS9_4plusIvEENS9_8equal_toIvEEiEE10hipError_tPvRmT2_T3_T4_T5_mT6_T7_P12ihipStream_tbENKUlT_T0_E_clISt17integral_constantIbLb0EES15_EEDaS10_S11_EUlS10_E_NS1_11comp_targetILNS1_3genE0ELNS1_11target_archE4294967295ELNS1_3gpuE0ELNS1_3repE0EEENS1_30default_config_static_selectorELNS0_4arch9wavefront6targetE0EEEvT1_,comdat
	.protected	_ZN7rocprim17ROCPRIM_400000_NS6detail17trampoline_kernelINS0_14default_configENS1_27scan_by_key_config_selectorImiEEZZNS1_16scan_by_key_implILNS1_25lookback_scan_determinismE0ELb0ES3_N6thrust23THRUST_200600_302600_NS18transform_iteratorI9row_indexNS9_17counting_iteratorImNS9_11use_defaultESD_SD_EESD_SD_EENS9_6detail15normal_iteratorINS9_10device_ptrIiEEEESK_iNS9_4plusIvEENS9_8equal_toIvEEiEE10hipError_tPvRmT2_T3_T4_T5_mT6_T7_P12ihipStream_tbENKUlT_T0_E_clISt17integral_constantIbLb0EES15_EEDaS10_S11_EUlS10_E_NS1_11comp_targetILNS1_3genE0ELNS1_11target_archE4294967295ELNS1_3gpuE0ELNS1_3repE0EEENS1_30default_config_static_selectorELNS0_4arch9wavefront6targetE0EEEvT1_ ; -- Begin function _ZN7rocprim17ROCPRIM_400000_NS6detail17trampoline_kernelINS0_14default_configENS1_27scan_by_key_config_selectorImiEEZZNS1_16scan_by_key_implILNS1_25lookback_scan_determinismE0ELb0ES3_N6thrust23THRUST_200600_302600_NS18transform_iteratorI9row_indexNS9_17counting_iteratorImNS9_11use_defaultESD_SD_EESD_SD_EENS9_6detail15normal_iteratorINS9_10device_ptrIiEEEESK_iNS9_4plusIvEENS9_8equal_toIvEEiEE10hipError_tPvRmT2_T3_T4_T5_mT6_T7_P12ihipStream_tbENKUlT_T0_E_clISt17integral_constantIbLb0EES15_EEDaS10_S11_EUlS10_E_NS1_11comp_targetILNS1_3genE0ELNS1_11target_archE4294967295ELNS1_3gpuE0ELNS1_3repE0EEENS1_30default_config_static_selectorELNS0_4arch9wavefront6targetE0EEEvT1_
	.globl	_ZN7rocprim17ROCPRIM_400000_NS6detail17trampoline_kernelINS0_14default_configENS1_27scan_by_key_config_selectorImiEEZZNS1_16scan_by_key_implILNS1_25lookback_scan_determinismE0ELb0ES3_N6thrust23THRUST_200600_302600_NS18transform_iteratorI9row_indexNS9_17counting_iteratorImNS9_11use_defaultESD_SD_EESD_SD_EENS9_6detail15normal_iteratorINS9_10device_ptrIiEEEESK_iNS9_4plusIvEENS9_8equal_toIvEEiEE10hipError_tPvRmT2_T3_T4_T5_mT6_T7_P12ihipStream_tbENKUlT_T0_E_clISt17integral_constantIbLb0EES15_EEDaS10_S11_EUlS10_E_NS1_11comp_targetILNS1_3genE0ELNS1_11target_archE4294967295ELNS1_3gpuE0ELNS1_3repE0EEENS1_30default_config_static_selectorELNS0_4arch9wavefront6targetE0EEEvT1_
	.p2align	8
	.type	_ZN7rocprim17ROCPRIM_400000_NS6detail17trampoline_kernelINS0_14default_configENS1_27scan_by_key_config_selectorImiEEZZNS1_16scan_by_key_implILNS1_25lookback_scan_determinismE0ELb0ES3_N6thrust23THRUST_200600_302600_NS18transform_iteratorI9row_indexNS9_17counting_iteratorImNS9_11use_defaultESD_SD_EESD_SD_EENS9_6detail15normal_iteratorINS9_10device_ptrIiEEEESK_iNS9_4plusIvEENS9_8equal_toIvEEiEE10hipError_tPvRmT2_T3_T4_T5_mT6_T7_P12ihipStream_tbENKUlT_T0_E_clISt17integral_constantIbLb0EES15_EEDaS10_S11_EUlS10_E_NS1_11comp_targetILNS1_3genE0ELNS1_11target_archE4294967295ELNS1_3gpuE0ELNS1_3repE0EEENS1_30default_config_static_selectorELNS0_4arch9wavefront6targetE0EEEvT1_,@function
_ZN7rocprim17ROCPRIM_400000_NS6detail17trampoline_kernelINS0_14default_configENS1_27scan_by_key_config_selectorImiEEZZNS1_16scan_by_key_implILNS1_25lookback_scan_determinismE0ELb0ES3_N6thrust23THRUST_200600_302600_NS18transform_iteratorI9row_indexNS9_17counting_iteratorImNS9_11use_defaultESD_SD_EESD_SD_EENS9_6detail15normal_iteratorINS9_10device_ptrIiEEEESK_iNS9_4plusIvEENS9_8equal_toIvEEiEE10hipError_tPvRmT2_T3_T4_T5_mT6_T7_P12ihipStream_tbENKUlT_T0_E_clISt17integral_constantIbLb0EES15_EEDaS10_S11_EUlS10_E_NS1_11comp_targetILNS1_3genE0ELNS1_11target_archE4294967295ELNS1_3gpuE0ELNS1_3repE0EEENS1_30default_config_static_selectorELNS0_4arch9wavefront6targetE0EEEvT1_: ; @_ZN7rocprim17ROCPRIM_400000_NS6detail17trampoline_kernelINS0_14default_configENS1_27scan_by_key_config_selectorImiEEZZNS1_16scan_by_key_implILNS1_25lookback_scan_determinismE0ELb0ES3_N6thrust23THRUST_200600_302600_NS18transform_iteratorI9row_indexNS9_17counting_iteratorImNS9_11use_defaultESD_SD_EESD_SD_EENS9_6detail15normal_iteratorINS9_10device_ptrIiEEEESK_iNS9_4plusIvEENS9_8equal_toIvEEiEE10hipError_tPvRmT2_T3_T4_T5_mT6_T7_P12ihipStream_tbENKUlT_T0_E_clISt17integral_constantIbLb0EES15_EEDaS10_S11_EUlS10_E_NS1_11comp_targetILNS1_3genE0ELNS1_11target_archE4294967295ELNS1_3gpuE0ELNS1_3repE0EEENS1_30default_config_static_selectorELNS0_4arch9wavefront6targetE0EEEvT1_
; %bb.0:
	.section	.rodata,"a",@progbits
	.p2align	6, 0x0
	.amdhsa_kernel _ZN7rocprim17ROCPRIM_400000_NS6detail17trampoline_kernelINS0_14default_configENS1_27scan_by_key_config_selectorImiEEZZNS1_16scan_by_key_implILNS1_25lookback_scan_determinismE0ELb0ES3_N6thrust23THRUST_200600_302600_NS18transform_iteratorI9row_indexNS9_17counting_iteratorImNS9_11use_defaultESD_SD_EESD_SD_EENS9_6detail15normal_iteratorINS9_10device_ptrIiEEEESK_iNS9_4plusIvEENS9_8equal_toIvEEiEE10hipError_tPvRmT2_T3_T4_T5_mT6_T7_P12ihipStream_tbENKUlT_T0_E_clISt17integral_constantIbLb0EES15_EEDaS10_S11_EUlS10_E_NS1_11comp_targetILNS1_3genE0ELNS1_11target_archE4294967295ELNS1_3gpuE0ELNS1_3repE0EEENS1_30default_config_static_selectorELNS0_4arch9wavefront6targetE0EEEvT1_
		.amdhsa_group_segment_fixed_size 0
		.amdhsa_private_segment_fixed_size 0
		.amdhsa_kernarg_size 120
		.amdhsa_user_sgpr_count 6
		.amdhsa_user_sgpr_private_segment_buffer 1
		.amdhsa_user_sgpr_dispatch_ptr 0
		.amdhsa_user_sgpr_queue_ptr 0
		.amdhsa_user_sgpr_kernarg_segment_ptr 1
		.amdhsa_user_sgpr_dispatch_id 0
		.amdhsa_user_sgpr_flat_scratch_init 0
		.amdhsa_user_sgpr_private_segment_size 0
		.amdhsa_wavefront_size32 1
		.amdhsa_uses_dynamic_stack 0
		.amdhsa_system_sgpr_private_segment_wavefront_offset 0
		.amdhsa_system_sgpr_workgroup_id_x 1
		.amdhsa_system_sgpr_workgroup_id_y 0
		.amdhsa_system_sgpr_workgroup_id_z 0
		.amdhsa_system_sgpr_workgroup_info 0
		.amdhsa_system_vgpr_workitem_id 0
		.amdhsa_next_free_vgpr 1
		.amdhsa_next_free_sgpr 1
		.amdhsa_reserve_vcc 0
		.amdhsa_reserve_flat_scratch 0
		.amdhsa_float_round_mode_32 0
		.amdhsa_float_round_mode_16_64 0
		.amdhsa_float_denorm_mode_32 3
		.amdhsa_float_denorm_mode_16_64 3
		.amdhsa_dx10_clamp 1
		.amdhsa_ieee_mode 1
		.amdhsa_fp16_overflow 0
		.amdhsa_workgroup_processor_mode 1
		.amdhsa_memory_ordered 1
		.amdhsa_forward_progress 1
		.amdhsa_shared_vgpr_count 0
		.amdhsa_exception_fp_ieee_invalid_op 0
		.amdhsa_exception_fp_denorm_src 0
		.amdhsa_exception_fp_ieee_div_zero 0
		.amdhsa_exception_fp_ieee_overflow 0
		.amdhsa_exception_fp_ieee_underflow 0
		.amdhsa_exception_fp_ieee_inexact 0
		.amdhsa_exception_int_div_zero 0
	.end_amdhsa_kernel
	.section	.text._ZN7rocprim17ROCPRIM_400000_NS6detail17trampoline_kernelINS0_14default_configENS1_27scan_by_key_config_selectorImiEEZZNS1_16scan_by_key_implILNS1_25lookback_scan_determinismE0ELb0ES3_N6thrust23THRUST_200600_302600_NS18transform_iteratorI9row_indexNS9_17counting_iteratorImNS9_11use_defaultESD_SD_EESD_SD_EENS9_6detail15normal_iteratorINS9_10device_ptrIiEEEESK_iNS9_4plusIvEENS9_8equal_toIvEEiEE10hipError_tPvRmT2_T3_T4_T5_mT6_T7_P12ihipStream_tbENKUlT_T0_E_clISt17integral_constantIbLb0EES15_EEDaS10_S11_EUlS10_E_NS1_11comp_targetILNS1_3genE0ELNS1_11target_archE4294967295ELNS1_3gpuE0ELNS1_3repE0EEENS1_30default_config_static_selectorELNS0_4arch9wavefront6targetE0EEEvT1_,"axG",@progbits,_ZN7rocprim17ROCPRIM_400000_NS6detail17trampoline_kernelINS0_14default_configENS1_27scan_by_key_config_selectorImiEEZZNS1_16scan_by_key_implILNS1_25lookback_scan_determinismE0ELb0ES3_N6thrust23THRUST_200600_302600_NS18transform_iteratorI9row_indexNS9_17counting_iteratorImNS9_11use_defaultESD_SD_EESD_SD_EENS9_6detail15normal_iteratorINS9_10device_ptrIiEEEESK_iNS9_4plusIvEENS9_8equal_toIvEEiEE10hipError_tPvRmT2_T3_T4_T5_mT6_T7_P12ihipStream_tbENKUlT_T0_E_clISt17integral_constantIbLb0EES15_EEDaS10_S11_EUlS10_E_NS1_11comp_targetILNS1_3genE0ELNS1_11target_archE4294967295ELNS1_3gpuE0ELNS1_3repE0EEENS1_30default_config_static_selectorELNS0_4arch9wavefront6targetE0EEEvT1_,comdat
.Lfunc_end3:
	.size	_ZN7rocprim17ROCPRIM_400000_NS6detail17trampoline_kernelINS0_14default_configENS1_27scan_by_key_config_selectorImiEEZZNS1_16scan_by_key_implILNS1_25lookback_scan_determinismE0ELb0ES3_N6thrust23THRUST_200600_302600_NS18transform_iteratorI9row_indexNS9_17counting_iteratorImNS9_11use_defaultESD_SD_EESD_SD_EENS9_6detail15normal_iteratorINS9_10device_ptrIiEEEESK_iNS9_4plusIvEENS9_8equal_toIvEEiEE10hipError_tPvRmT2_T3_T4_T5_mT6_T7_P12ihipStream_tbENKUlT_T0_E_clISt17integral_constantIbLb0EES15_EEDaS10_S11_EUlS10_E_NS1_11comp_targetILNS1_3genE0ELNS1_11target_archE4294967295ELNS1_3gpuE0ELNS1_3repE0EEENS1_30default_config_static_selectorELNS0_4arch9wavefront6targetE0EEEvT1_, .Lfunc_end3-_ZN7rocprim17ROCPRIM_400000_NS6detail17trampoline_kernelINS0_14default_configENS1_27scan_by_key_config_selectorImiEEZZNS1_16scan_by_key_implILNS1_25lookback_scan_determinismE0ELb0ES3_N6thrust23THRUST_200600_302600_NS18transform_iteratorI9row_indexNS9_17counting_iteratorImNS9_11use_defaultESD_SD_EESD_SD_EENS9_6detail15normal_iteratorINS9_10device_ptrIiEEEESK_iNS9_4plusIvEENS9_8equal_toIvEEiEE10hipError_tPvRmT2_T3_T4_T5_mT6_T7_P12ihipStream_tbENKUlT_T0_E_clISt17integral_constantIbLb0EES15_EEDaS10_S11_EUlS10_E_NS1_11comp_targetILNS1_3genE0ELNS1_11target_archE4294967295ELNS1_3gpuE0ELNS1_3repE0EEENS1_30default_config_static_selectorELNS0_4arch9wavefront6targetE0EEEvT1_
                                        ; -- End function
	.set _ZN7rocprim17ROCPRIM_400000_NS6detail17trampoline_kernelINS0_14default_configENS1_27scan_by_key_config_selectorImiEEZZNS1_16scan_by_key_implILNS1_25lookback_scan_determinismE0ELb0ES3_N6thrust23THRUST_200600_302600_NS18transform_iteratorI9row_indexNS9_17counting_iteratorImNS9_11use_defaultESD_SD_EESD_SD_EENS9_6detail15normal_iteratorINS9_10device_ptrIiEEEESK_iNS9_4plusIvEENS9_8equal_toIvEEiEE10hipError_tPvRmT2_T3_T4_T5_mT6_T7_P12ihipStream_tbENKUlT_T0_E_clISt17integral_constantIbLb0EES15_EEDaS10_S11_EUlS10_E_NS1_11comp_targetILNS1_3genE0ELNS1_11target_archE4294967295ELNS1_3gpuE0ELNS1_3repE0EEENS1_30default_config_static_selectorELNS0_4arch9wavefront6targetE0EEEvT1_.num_vgpr, 0
	.set _ZN7rocprim17ROCPRIM_400000_NS6detail17trampoline_kernelINS0_14default_configENS1_27scan_by_key_config_selectorImiEEZZNS1_16scan_by_key_implILNS1_25lookback_scan_determinismE0ELb0ES3_N6thrust23THRUST_200600_302600_NS18transform_iteratorI9row_indexNS9_17counting_iteratorImNS9_11use_defaultESD_SD_EESD_SD_EENS9_6detail15normal_iteratorINS9_10device_ptrIiEEEESK_iNS9_4plusIvEENS9_8equal_toIvEEiEE10hipError_tPvRmT2_T3_T4_T5_mT6_T7_P12ihipStream_tbENKUlT_T0_E_clISt17integral_constantIbLb0EES15_EEDaS10_S11_EUlS10_E_NS1_11comp_targetILNS1_3genE0ELNS1_11target_archE4294967295ELNS1_3gpuE0ELNS1_3repE0EEENS1_30default_config_static_selectorELNS0_4arch9wavefront6targetE0EEEvT1_.num_agpr, 0
	.set _ZN7rocprim17ROCPRIM_400000_NS6detail17trampoline_kernelINS0_14default_configENS1_27scan_by_key_config_selectorImiEEZZNS1_16scan_by_key_implILNS1_25lookback_scan_determinismE0ELb0ES3_N6thrust23THRUST_200600_302600_NS18transform_iteratorI9row_indexNS9_17counting_iteratorImNS9_11use_defaultESD_SD_EESD_SD_EENS9_6detail15normal_iteratorINS9_10device_ptrIiEEEESK_iNS9_4plusIvEENS9_8equal_toIvEEiEE10hipError_tPvRmT2_T3_T4_T5_mT6_T7_P12ihipStream_tbENKUlT_T0_E_clISt17integral_constantIbLb0EES15_EEDaS10_S11_EUlS10_E_NS1_11comp_targetILNS1_3genE0ELNS1_11target_archE4294967295ELNS1_3gpuE0ELNS1_3repE0EEENS1_30default_config_static_selectorELNS0_4arch9wavefront6targetE0EEEvT1_.numbered_sgpr, 0
	.set _ZN7rocprim17ROCPRIM_400000_NS6detail17trampoline_kernelINS0_14default_configENS1_27scan_by_key_config_selectorImiEEZZNS1_16scan_by_key_implILNS1_25lookback_scan_determinismE0ELb0ES3_N6thrust23THRUST_200600_302600_NS18transform_iteratorI9row_indexNS9_17counting_iteratorImNS9_11use_defaultESD_SD_EESD_SD_EENS9_6detail15normal_iteratorINS9_10device_ptrIiEEEESK_iNS9_4plusIvEENS9_8equal_toIvEEiEE10hipError_tPvRmT2_T3_T4_T5_mT6_T7_P12ihipStream_tbENKUlT_T0_E_clISt17integral_constantIbLb0EES15_EEDaS10_S11_EUlS10_E_NS1_11comp_targetILNS1_3genE0ELNS1_11target_archE4294967295ELNS1_3gpuE0ELNS1_3repE0EEENS1_30default_config_static_selectorELNS0_4arch9wavefront6targetE0EEEvT1_.num_named_barrier, 0
	.set _ZN7rocprim17ROCPRIM_400000_NS6detail17trampoline_kernelINS0_14default_configENS1_27scan_by_key_config_selectorImiEEZZNS1_16scan_by_key_implILNS1_25lookback_scan_determinismE0ELb0ES3_N6thrust23THRUST_200600_302600_NS18transform_iteratorI9row_indexNS9_17counting_iteratorImNS9_11use_defaultESD_SD_EESD_SD_EENS9_6detail15normal_iteratorINS9_10device_ptrIiEEEESK_iNS9_4plusIvEENS9_8equal_toIvEEiEE10hipError_tPvRmT2_T3_T4_T5_mT6_T7_P12ihipStream_tbENKUlT_T0_E_clISt17integral_constantIbLb0EES15_EEDaS10_S11_EUlS10_E_NS1_11comp_targetILNS1_3genE0ELNS1_11target_archE4294967295ELNS1_3gpuE0ELNS1_3repE0EEENS1_30default_config_static_selectorELNS0_4arch9wavefront6targetE0EEEvT1_.private_seg_size, 0
	.set _ZN7rocprim17ROCPRIM_400000_NS6detail17trampoline_kernelINS0_14default_configENS1_27scan_by_key_config_selectorImiEEZZNS1_16scan_by_key_implILNS1_25lookback_scan_determinismE0ELb0ES3_N6thrust23THRUST_200600_302600_NS18transform_iteratorI9row_indexNS9_17counting_iteratorImNS9_11use_defaultESD_SD_EESD_SD_EENS9_6detail15normal_iteratorINS9_10device_ptrIiEEEESK_iNS9_4plusIvEENS9_8equal_toIvEEiEE10hipError_tPvRmT2_T3_T4_T5_mT6_T7_P12ihipStream_tbENKUlT_T0_E_clISt17integral_constantIbLb0EES15_EEDaS10_S11_EUlS10_E_NS1_11comp_targetILNS1_3genE0ELNS1_11target_archE4294967295ELNS1_3gpuE0ELNS1_3repE0EEENS1_30default_config_static_selectorELNS0_4arch9wavefront6targetE0EEEvT1_.uses_vcc, 0
	.set _ZN7rocprim17ROCPRIM_400000_NS6detail17trampoline_kernelINS0_14default_configENS1_27scan_by_key_config_selectorImiEEZZNS1_16scan_by_key_implILNS1_25lookback_scan_determinismE0ELb0ES3_N6thrust23THRUST_200600_302600_NS18transform_iteratorI9row_indexNS9_17counting_iteratorImNS9_11use_defaultESD_SD_EESD_SD_EENS9_6detail15normal_iteratorINS9_10device_ptrIiEEEESK_iNS9_4plusIvEENS9_8equal_toIvEEiEE10hipError_tPvRmT2_T3_T4_T5_mT6_T7_P12ihipStream_tbENKUlT_T0_E_clISt17integral_constantIbLb0EES15_EEDaS10_S11_EUlS10_E_NS1_11comp_targetILNS1_3genE0ELNS1_11target_archE4294967295ELNS1_3gpuE0ELNS1_3repE0EEENS1_30default_config_static_selectorELNS0_4arch9wavefront6targetE0EEEvT1_.uses_flat_scratch, 0
	.set _ZN7rocprim17ROCPRIM_400000_NS6detail17trampoline_kernelINS0_14default_configENS1_27scan_by_key_config_selectorImiEEZZNS1_16scan_by_key_implILNS1_25lookback_scan_determinismE0ELb0ES3_N6thrust23THRUST_200600_302600_NS18transform_iteratorI9row_indexNS9_17counting_iteratorImNS9_11use_defaultESD_SD_EESD_SD_EENS9_6detail15normal_iteratorINS9_10device_ptrIiEEEESK_iNS9_4plusIvEENS9_8equal_toIvEEiEE10hipError_tPvRmT2_T3_T4_T5_mT6_T7_P12ihipStream_tbENKUlT_T0_E_clISt17integral_constantIbLb0EES15_EEDaS10_S11_EUlS10_E_NS1_11comp_targetILNS1_3genE0ELNS1_11target_archE4294967295ELNS1_3gpuE0ELNS1_3repE0EEENS1_30default_config_static_selectorELNS0_4arch9wavefront6targetE0EEEvT1_.has_dyn_sized_stack, 0
	.set _ZN7rocprim17ROCPRIM_400000_NS6detail17trampoline_kernelINS0_14default_configENS1_27scan_by_key_config_selectorImiEEZZNS1_16scan_by_key_implILNS1_25lookback_scan_determinismE0ELb0ES3_N6thrust23THRUST_200600_302600_NS18transform_iteratorI9row_indexNS9_17counting_iteratorImNS9_11use_defaultESD_SD_EESD_SD_EENS9_6detail15normal_iteratorINS9_10device_ptrIiEEEESK_iNS9_4plusIvEENS9_8equal_toIvEEiEE10hipError_tPvRmT2_T3_T4_T5_mT6_T7_P12ihipStream_tbENKUlT_T0_E_clISt17integral_constantIbLb0EES15_EEDaS10_S11_EUlS10_E_NS1_11comp_targetILNS1_3genE0ELNS1_11target_archE4294967295ELNS1_3gpuE0ELNS1_3repE0EEENS1_30default_config_static_selectorELNS0_4arch9wavefront6targetE0EEEvT1_.has_recursion, 0
	.set _ZN7rocprim17ROCPRIM_400000_NS6detail17trampoline_kernelINS0_14default_configENS1_27scan_by_key_config_selectorImiEEZZNS1_16scan_by_key_implILNS1_25lookback_scan_determinismE0ELb0ES3_N6thrust23THRUST_200600_302600_NS18transform_iteratorI9row_indexNS9_17counting_iteratorImNS9_11use_defaultESD_SD_EESD_SD_EENS9_6detail15normal_iteratorINS9_10device_ptrIiEEEESK_iNS9_4plusIvEENS9_8equal_toIvEEiEE10hipError_tPvRmT2_T3_T4_T5_mT6_T7_P12ihipStream_tbENKUlT_T0_E_clISt17integral_constantIbLb0EES15_EEDaS10_S11_EUlS10_E_NS1_11comp_targetILNS1_3genE0ELNS1_11target_archE4294967295ELNS1_3gpuE0ELNS1_3repE0EEENS1_30default_config_static_selectorELNS0_4arch9wavefront6targetE0EEEvT1_.has_indirect_call, 0
	.section	.AMDGPU.csdata,"",@progbits
; Kernel info:
; codeLenInByte = 0
; TotalNumSgprs: 0
; NumVgprs: 0
; ScratchSize: 0
; MemoryBound: 0
; FloatMode: 240
; IeeeMode: 1
; LDSByteSize: 0 bytes/workgroup (compile time only)
; SGPRBlocks: 0
; VGPRBlocks: 0
; NumSGPRsForWavesPerEU: 1
; NumVGPRsForWavesPerEU: 1
; Occupancy: 16
; WaveLimiterHint : 0
; COMPUTE_PGM_RSRC2:SCRATCH_EN: 0
; COMPUTE_PGM_RSRC2:USER_SGPR: 6
; COMPUTE_PGM_RSRC2:TRAP_HANDLER: 0
; COMPUTE_PGM_RSRC2:TGID_X_EN: 1
; COMPUTE_PGM_RSRC2:TGID_Y_EN: 0
; COMPUTE_PGM_RSRC2:TGID_Z_EN: 0
; COMPUTE_PGM_RSRC2:TIDIG_COMP_CNT: 0
	.section	.text._ZN7rocprim17ROCPRIM_400000_NS6detail17trampoline_kernelINS0_14default_configENS1_27scan_by_key_config_selectorImiEEZZNS1_16scan_by_key_implILNS1_25lookback_scan_determinismE0ELb0ES3_N6thrust23THRUST_200600_302600_NS18transform_iteratorI9row_indexNS9_17counting_iteratorImNS9_11use_defaultESD_SD_EESD_SD_EENS9_6detail15normal_iteratorINS9_10device_ptrIiEEEESK_iNS9_4plusIvEENS9_8equal_toIvEEiEE10hipError_tPvRmT2_T3_T4_T5_mT6_T7_P12ihipStream_tbENKUlT_T0_E_clISt17integral_constantIbLb0EES15_EEDaS10_S11_EUlS10_E_NS1_11comp_targetILNS1_3genE10ELNS1_11target_archE1201ELNS1_3gpuE5ELNS1_3repE0EEENS1_30default_config_static_selectorELNS0_4arch9wavefront6targetE0EEEvT1_,"axG",@progbits,_ZN7rocprim17ROCPRIM_400000_NS6detail17trampoline_kernelINS0_14default_configENS1_27scan_by_key_config_selectorImiEEZZNS1_16scan_by_key_implILNS1_25lookback_scan_determinismE0ELb0ES3_N6thrust23THRUST_200600_302600_NS18transform_iteratorI9row_indexNS9_17counting_iteratorImNS9_11use_defaultESD_SD_EESD_SD_EENS9_6detail15normal_iteratorINS9_10device_ptrIiEEEESK_iNS9_4plusIvEENS9_8equal_toIvEEiEE10hipError_tPvRmT2_T3_T4_T5_mT6_T7_P12ihipStream_tbENKUlT_T0_E_clISt17integral_constantIbLb0EES15_EEDaS10_S11_EUlS10_E_NS1_11comp_targetILNS1_3genE10ELNS1_11target_archE1201ELNS1_3gpuE5ELNS1_3repE0EEENS1_30default_config_static_selectorELNS0_4arch9wavefront6targetE0EEEvT1_,comdat
	.protected	_ZN7rocprim17ROCPRIM_400000_NS6detail17trampoline_kernelINS0_14default_configENS1_27scan_by_key_config_selectorImiEEZZNS1_16scan_by_key_implILNS1_25lookback_scan_determinismE0ELb0ES3_N6thrust23THRUST_200600_302600_NS18transform_iteratorI9row_indexNS9_17counting_iteratorImNS9_11use_defaultESD_SD_EESD_SD_EENS9_6detail15normal_iteratorINS9_10device_ptrIiEEEESK_iNS9_4plusIvEENS9_8equal_toIvEEiEE10hipError_tPvRmT2_T3_T4_T5_mT6_T7_P12ihipStream_tbENKUlT_T0_E_clISt17integral_constantIbLb0EES15_EEDaS10_S11_EUlS10_E_NS1_11comp_targetILNS1_3genE10ELNS1_11target_archE1201ELNS1_3gpuE5ELNS1_3repE0EEENS1_30default_config_static_selectorELNS0_4arch9wavefront6targetE0EEEvT1_ ; -- Begin function _ZN7rocprim17ROCPRIM_400000_NS6detail17trampoline_kernelINS0_14default_configENS1_27scan_by_key_config_selectorImiEEZZNS1_16scan_by_key_implILNS1_25lookback_scan_determinismE0ELb0ES3_N6thrust23THRUST_200600_302600_NS18transform_iteratorI9row_indexNS9_17counting_iteratorImNS9_11use_defaultESD_SD_EESD_SD_EENS9_6detail15normal_iteratorINS9_10device_ptrIiEEEESK_iNS9_4plusIvEENS9_8equal_toIvEEiEE10hipError_tPvRmT2_T3_T4_T5_mT6_T7_P12ihipStream_tbENKUlT_T0_E_clISt17integral_constantIbLb0EES15_EEDaS10_S11_EUlS10_E_NS1_11comp_targetILNS1_3genE10ELNS1_11target_archE1201ELNS1_3gpuE5ELNS1_3repE0EEENS1_30default_config_static_selectorELNS0_4arch9wavefront6targetE0EEEvT1_
	.globl	_ZN7rocprim17ROCPRIM_400000_NS6detail17trampoline_kernelINS0_14default_configENS1_27scan_by_key_config_selectorImiEEZZNS1_16scan_by_key_implILNS1_25lookback_scan_determinismE0ELb0ES3_N6thrust23THRUST_200600_302600_NS18transform_iteratorI9row_indexNS9_17counting_iteratorImNS9_11use_defaultESD_SD_EESD_SD_EENS9_6detail15normal_iteratorINS9_10device_ptrIiEEEESK_iNS9_4plusIvEENS9_8equal_toIvEEiEE10hipError_tPvRmT2_T3_T4_T5_mT6_T7_P12ihipStream_tbENKUlT_T0_E_clISt17integral_constantIbLb0EES15_EEDaS10_S11_EUlS10_E_NS1_11comp_targetILNS1_3genE10ELNS1_11target_archE1201ELNS1_3gpuE5ELNS1_3repE0EEENS1_30default_config_static_selectorELNS0_4arch9wavefront6targetE0EEEvT1_
	.p2align	8
	.type	_ZN7rocprim17ROCPRIM_400000_NS6detail17trampoline_kernelINS0_14default_configENS1_27scan_by_key_config_selectorImiEEZZNS1_16scan_by_key_implILNS1_25lookback_scan_determinismE0ELb0ES3_N6thrust23THRUST_200600_302600_NS18transform_iteratorI9row_indexNS9_17counting_iteratorImNS9_11use_defaultESD_SD_EESD_SD_EENS9_6detail15normal_iteratorINS9_10device_ptrIiEEEESK_iNS9_4plusIvEENS9_8equal_toIvEEiEE10hipError_tPvRmT2_T3_T4_T5_mT6_T7_P12ihipStream_tbENKUlT_T0_E_clISt17integral_constantIbLb0EES15_EEDaS10_S11_EUlS10_E_NS1_11comp_targetILNS1_3genE10ELNS1_11target_archE1201ELNS1_3gpuE5ELNS1_3repE0EEENS1_30default_config_static_selectorELNS0_4arch9wavefront6targetE0EEEvT1_,@function
_ZN7rocprim17ROCPRIM_400000_NS6detail17trampoline_kernelINS0_14default_configENS1_27scan_by_key_config_selectorImiEEZZNS1_16scan_by_key_implILNS1_25lookback_scan_determinismE0ELb0ES3_N6thrust23THRUST_200600_302600_NS18transform_iteratorI9row_indexNS9_17counting_iteratorImNS9_11use_defaultESD_SD_EESD_SD_EENS9_6detail15normal_iteratorINS9_10device_ptrIiEEEESK_iNS9_4plusIvEENS9_8equal_toIvEEiEE10hipError_tPvRmT2_T3_T4_T5_mT6_T7_P12ihipStream_tbENKUlT_T0_E_clISt17integral_constantIbLb0EES15_EEDaS10_S11_EUlS10_E_NS1_11comp_targetILNS1_3genE10ELNS1_11target_archE1201ELNS1_3gpuE5ELNS1_3repE0EEENS1_30default_config_static_selectorELNS0_4arch9wavefront6targetE0EEEvT1_: ; @_ZN7rocprim17ROCPRIM_400000_NS6detail17trampoline_kernelINS0_14default_configENS1_27scan_by_key_config_selectorImiEEZZNS1_16scan_by_key_implILNS1_25lookback_scan_determinismE0ELb0ES3_N6thrust23THRUST_200600_302600_NS18transform_iteratorI9row_indexNS9_17counting_iteratorImNS9_11use_defaultESD_SD_EESD_SD_EENS9_6detail15normal_iteratorINS9_10device_ptrIiEEEESK_iNS9_4plusIvEENS9_8equal_toIvEEiEE10hipError_tPvRmT2_T3_T4_T5_mT6_T7_P12ihipStream_tbENKUlT_T0_E_clISt17integral_constantIbLb0EES15_EEDaS10_S11_EUlS10_E_NS1_11comp_targetILNS1_3genE10ELNS1_11target_archE1201ELNS1_3gpuE5ELNS1_3repE0EEENS1_30default_config_static_selectorELNS0_4arch9wavefront6targetE0EEEvT1_
; %bb.0:
	.section	.rodata,"a",@progbits
	.p2align	6, 0x0
	.amdhsa_kernel _ZN7rocprim17ROCPRIM_400000_NS6detail17trampoline_kernelINS0_14default_configENS1_27scan_by_key_config_selectorImiEEZZNS1_16scan_by_key_implILNS1_25lookback_scan_determinismE0ELb0ES3_N6thrust23THRUST_200600_302600_NS18transform_iteratorI9row_indexNS9_17counting_iteratorImNS9_11use_defaultESD_SD_EESD_SD_EENS9_6detail15normal_iteratorINS9_10device_ptrIiEEEESK_iNS9_4plusIvEENS9_8equal_toIvEEiEE10hipError_tPvRmT2_T3_T4_T5_mT6_T7_P12ihipStream_tbENKUlT_T0_E_clISt17integral_constantIbLb0EES15_EEDaS10_S11_EUlS10_E_NS1_11comp_targetILNS1_3genE10ELNS1_11target_archE1201ELNS1_3gpuE5ELNS1_3repE0EEENS1_30default_config_static_selectorELNS0_4arch9wavefront6targetE0EEEvT1_
		.amdhsa_group_segment_fixed_size 0
		.amdhsa_private_segment_fixed_size 0
		.amdhsa_kernarg_size 120
		.amdhsa_user_sgpr_count 6
		.amdhsa_user_sgpr_private_segment_buffer 1
		.amdhsa_user_sgpr_dispatch_ptr 0
		.amdhsa_user_sgpr_queue_ptr 0
		.amdhsa_user_sgpr_kernarg_segment_ptr 1
		.amdhsa_user_sgpr_dispatch_id 0
		.amdhsa_user_sgpr_flat_scratch_init 0
		.amdhsa_user_sgpr_private_segment_size 0
		.amdhsa_wavefront_size32 1
		.amdhsa_uses_dynamic_stack 0
		.amdhsa_system_sgpr_private_segment_wavefront_offset 0
		.amdhsa_system_sgpr_workgroup_id_x 1
		.amdhsa_system_sgpr_workgroup_id_y 0
		.amdhsa_system_sgpr_workgroup_id_z 0
		.amdhsa_system_sgpr_workgroup_info 0
		.amdhsa_system_vgpr_workitem_id 0
		.amdhsa_next_free_vgpr 1
		.amdhsa_next_free_sgpr 1
		.amdhsa_reserve_vcc 0
		.amdhsa_reserve_flat_scratch 0
		.amdhsa_float_round_mode_32 0
		.amdhsa_float_round_mode_16_64 0
		.amdhsa_float_denorm_mode_32 3
		.amdhsa_float_denorm_mode_16_64 3
		.amdhsa_dx10_clamp 1
		.amdhsa_ieee_mode 1
		.amdhsa_fp16_overflow 0
		.amdhsa_workgroup_processor_mode 1
		.amdhsa_memory_ordered 1
		.amdhsa_forward_progress 1
		.amdhsa_shared_vgpr_count 0
		.amdhsa_exception_fp_ieee_invalid_op 0
		.amdhsa_exception_fp_denorm_src 0
		.amdhsa_exception_fp_ieee_div_zero 0
		.amdhsa_exception_fp_ieee_overflow 0
		.amdhsa_exception_fp_ieee_underflow 0
		.amdhsa_exception_fp_ieee_inexact 0
		.amdhsa_exception_int_div_zero 0
	.end_amdhsa_kernel
	.section	.text._ZN7rocprim17ROCPRIM_400000_NS6detail17trampoline_kernelINS0_14default_configENS1_27scan_by_key_config_selectorImiEEZZNS1_16scan_by_key_implILNS1_25lookback_scan_determinismE0ELb0ES3_N6thrust23THRUST_200600_302600_NS18transform_iteratorI9row_indexNS9_17counting_iteratorImNS9_11use_defaultESD_SD_EESD_SD_EENS9_6detail15normal_iteratorINS9_10device_ptrIiEEEESK_iNS9_4plusIvEENS9_8equal_toIvEEiEE10hipError_tPvRmT2_T3_T4_T5_mT6_T7_P12ihipStream_tbENKUlT_T0_E_clISt17integral_constantIbLb0EES15_EEDaS10_S11_EUlS10_E_NS1_11comp_targetILNS1_3genE10ELNS1_11target_archE1201ELNS1_3gpuE5ELNS1_3repE0EEENS1_30default_config_static_selectorELNS0_4arch9wavefront6targetE0EEEvT1_,"axG",@progbits,_ZN7rocprim17ROCPRIM_400000_NS6detail17trampoline_kernelINS0_14default_configENS1_27scan_by_key_config_selectorImiEEZZNS1_16scan_by_key_implILNS1_25lookback_scan_determinismE0ELb0ES3_N6thrust23THRUST_200600_302600_NS18transform_iteratorI9row_indexNS9_17counting_iteratorImNS9_11use_defaultESD_SD_EESD_SD_EENS9_6detail15normal_iteratorINS9_10device_ptrIiEEEESK_iNS9_4plusIvEENS9_8equal_toIvEEiEE10hipError_tPvRmT2_T3_T4_T5_mT6_T7_P12ihipStream_tbENKUlT_T0_E_clISt17integral_constantIbLb0EES15_EEDaS10_S11_EUlS10_E_NS1_11comp_targetILNS1_3genE10ELNS1_11target_archE1201ELNS1_3gpuE5ELNS1_3repE0EEENS1_30default_config_static_selectorELNS0_4arch9wavefront6targetE0EEEvT1_,comdat
.Lfunc_end4:
	.size	_ZN7rocprim17ROCPRIM_400000_NS6detail17trampoline_kernelINS0_14default_configENS1_27scan_by_key_config_selectorImiEEZZNS1_16scan_by_key_implILNS1_25lookback_scan_determinismE0ELb0ES3_N6thrust23THRUST_200600_302600_NS18transform_iteratorI9row_indexNS9_17counting_iteratorImNS9_11use_defaultESD_SD_EESD_SD_EENS9_6detail15normal_iteratorINS9_10device_ptrIiEEEESK_iNS9_4plusIvEENS9_8equal_toIvEEiEE10hipError_tPvRmT2_T3_T4_T5_mT6_T7_P12ihipStream_tbENKUlT_T0_E_clISt17integral_constantIbLb0EES15_EEDaS10_S11_EUlS10_E_NS1_11comp_targetILNS1_3genE10ELNS1_11target_archE1201ELNS1_3gpuE5ELNS1_3repE0EEENS1_30default_config_static_selectorELNS0_4arch9wavefront6targetE0EEEvT1_, .Lfunc_end4-_ZN7rocprim17ROCPRIM_400000_NS6detail17trampoline_kernelINS0_14default_configENS1_27scan_by_key_config_selectorImiEEZZNS1_16scan_by_key_implILNS1_25lookback_scan_determinismE0ELb0ES3_N6thrust23THRUST_200600_302600_NS18transform_iteratorI9row_indexNS9_17counting_iteratorImNS9_11use_defaultESD_SD_EESD_SD_EENS9_6detail15normal_iteratorINS9_10device_ptrIiEEEESK_iNS9_4plusIvEENS9_8equal_toIvEEiEE10hipError_tPvRmT2_T3_T4_T5_mT6_T7_P12ihipStream_tbENKUlT_T0_E_clISt17integral_constantIbLb0EES15_EEDaS10_S11_EUlS10_E_NS1_11comp_targetILNS1_3genE10ELNS1_11target_archE1201ELNS1_3gpuE5ELNS1_3repE0EEENS1_30default_config_static_selectorELNS0_4arch9wavefront6targetE0EEEvT1_
                                        ; -- End function
	.set _ZN7rocprim17ROCPRIM_400000_NS6detail17trampoline_kernelINS0_14default_configENS1_27scan_by_key_config_selectorImiEEZZNS1_16scan_by_key_implILNS1_25lookback_scan_determinismE0ELb0ES3_N6thrust23THRUST_200600_302600_NS18transform_iteratorI9row_indexNS9_17counting_iteratorImNS9_11use_defaultESD_SD_EESD_SD_EENS9_6detail15normal_iteratorINS9_10device_ptrIiEEEESK_iNS9_4plusIvEENS9_8equal_toIvEEiEE10hipError_tPvRmT2_T3_T4_T5_mT6_T7_P12ihipStream_tbENKUlT_T0_E_clISt17integral_constantIbLb0EES15_EEDaS10_S11_EUlS10_E_NS1_11comp_targetILNS1_3genE10ELNS1_11target_archE1201ELNS1_3gpuE5ELNS1_3repE0EEENS1_30default_config_static_selectorELNS0_4arch9wavefront6targetE0EEEvT1_.num_vgpr, 0
	.set _ZN7rocprim17ROCPRIM_400000_NS6detail17trampoline_kernelINS0_14default_configENS1_27scan_by_key_config_selectorImiEEZZNS1_16scan_by_key_implILNS1_25lookback_scan_determinismE0ELb0ES3_N6thrust23THRUST_200600_302600_NS18transform_iteratorI9row_indexNS9_17counting_iteratorImNS9_11use_defaultESD_SD_EESD_SD_EENS9_6detail15normal_iteratorINS9_10device_ptrIiEEEESK_iNS9_4plusIvEENS9_8equal_toIvEEiEE10hipError_tPvRmT2_T3_T4_T5_mT6_T7_P12ihipStream_tbENKUlT_T0_E_clISt17integral_constantIbLb0EES15_EEDaS10_S11_EUlS10_E_NS1_11comp_targetILNS1_3genE10ELNS1_11target_archE1201ELNS1_3gpuE5ELNS1_3repE0EEENS1_30default_config_static_selectorELNS0_4arch9wavefront6targetE0EEEvT1_.num_agpr, 0
	.set _ZN7rocprim17ROCPRIM_400000_NS6detail17trampoline_kernelINS0_14default_configENS1_27scan_by_key_config_selectorImiEEZZNS1_16scan_by_key_implILNS1_25lookback_scan_determinismE0ELb0ES3_N6thrust23THRUST_200600_302600_NS18transform_iteratorI9row_indexNS9_17counting_iteratorImNS9_11use_defaultESD_SD_EESD_SD_EENS9_6detail15normal_iteratorINS9_10device_ptrIiEEEESK_iNS9_4plusIvEENS9_8equal_toIvEEiEE10hipError_tPvRmT2_T3_T4_T5_mT6_T7_P12ihipStream_tbENKUlT_T0_E_clISt17integral_constantIbLb0EES15_EEDaS10_S11_EUlS10_E_NS1_11comp_targetILNS1_3genE10ELNS1_11target_archE1201ELNS1_3gpuE5ELNS1_3repE0EEENS1_30default_config_static_selectorELNS0_4arch9wavefront6targetE0EEEvT1_.numbered_sgpr, 0
	.set _ZN7rocprim17ROCPRIM_400000_NS6detail17trampoline_kernelINS0_14default_configENS1_27scan_by_key_config_selectorImiEEZZNS1_16scan_by_key_implILNS1_25lookback_scan_determinismE0ELb0ES3_N6thrust23THRUST_200600_302600_NS18transform_iteratorI9row_indexNS9_17counting_iteratorImNS9_11use_defaultESD_SD_EESD_SD_EENS9_6detail15normal_iteratorINS9_10device_ptrIiEEEESK_iNS9_4plusIvEENS9_8equal_toIvEEiEE10hipError_tPvRmT2_T3_T4_T5_mT6_T7_P12ihipStream_tbENKUlT_T0_E_clISt17integral_constantIbLb0EES15_EEDaS10_S11_EUlS10_E_NS1_11comp_targetILNS1_3genE10ELNS1_11target_archE1201ELNS1_3gpuE5ELNS1_3repE0EEENS1_30default_config_static_selectorELNS0_4arch9wavefront6targetE0EEEvT1_.num_named_barrier, 0
	.set _ZN7rocprim17ROCPRIM_400000_NS6detail17trampoline_kernelINS0_14default_configENS1_27scan_by_key_config_selectorImiEEZZNS1_16scan_by_key_implILNS1_25lookback_scan_determinismE0ELb0ES3_N6thrust23THRUST_200600_302600_NS18transform_iteratorI9row_indexNS9_17counting_iteratorImNS9_11use_defaultESD_SD_EESD_SD_EENS9_6detail15normal_iteratorINS9_10device_ptrIiEEEESK_iNS9_4plusIvEENS9_8equal_toIvEEiEE10hipError_tPvRmT2_T3_T4_T5_mT6_T7_P12ihipStream_tbENKUlT_T0_E_clISt17integral_constantIbLb0EES15_EEDaS10_S11_EUlS10_E_NS1_11comp_targetILNS1_3genE10ELNS1_11target_archE1201ELNS1_3gpuE5ELNS1_3repE0EEENS1_30default_config_static_selectorELNS0_4arch9wavefront6targetE0EEEvT1_.private_seg_size, 0
	.set _ZN7rocprim17ROCPRIM_400000_NS6detail17trampoline_kernelINS0_14default_configENS1_27scan_by_key_config_selectorImiEEZZNS1_16scan_by_key_implILNS1_25lookback_scan_determinismE0ELb0ES3_N6thrust23THRUST_200600_302600_NS18transform_iteratorI9row_indexNS9_17counting_iteratorImNS9_11use_defaultESD_SD_EESD_SD_EENS9_6detail15normal_iteratorINS9_10device_ptrIiEEEESK_iNS9_4plusIvEENS9_8equal_toIvEEiEE10hipError_tPvRmT2_T3_T4_T5_mT6_T7_P12ihipStream_tbENKUlT_T0_E_clISt17integral_constantIbLb0EES15_EEDaS10_S11_EUlS10_E_NS1_11comp_targetILNS1_3genE10ELNS1_11target_archE1201ELNS1_3gpuE5ELNS1_3repE0EEENS1_30default_config_static_selectorELNS0_4arch9wavefront6targetE0EEEvT1_.uses_vcc, 0
	.set _ZN7rocprim17ROCPRIM_400000_NS6detail17trampoline_kernelINS0_14default_configENS1_27scan_by_key_config_selectorImiEEZZNS1_16scan_by_key_implILNS1_25lookback_scan_determinismE0ELb0ES3_N6thrust23THRUST_200600_302600_NS18transform_iteratorI9row_indexNS9_17counting_iteratorImNS9_11use_defaultESD_SD_EESD_SD_EENS9_6detail15normal_iteratorINS9_10device_ptrIiEEEESK_iNS9_4plusIvEENS9_8equal_toIvEEiEE10hipError_tPvRmT2_T3_T4_T5_mT6_T7_P12ihipStream_tbENKUlT_T0_E_clISt17integral_constantIbLb0EES15_EEDaS10_S11_EUlS10_E_NS1_11comp_targetILNS1_3genE10ELNS1_11target_archE1201ELNS1_3gpuE5ELNS1_3repE0EEENS1_30default_config_static_selectorELNS0_4arch9wavefront6targetE0EEEvT1_.uses_flat_scratch, 0
	.set _ZN7rocprim17ROCPRIM_400000_NS6detail17trampoline_kernelINS0_14default_configENS1_27scan_by_key_config_selectorImiEEZZNS1_16scan_by_key_implILNS1_25lookback_scan_determinismE0ELb0ES3_N6thrust23THRUST_200600_302600_NS18transform_iteratorI9row_indexNS9_17counting_iteratorImNS9_11use_defaultESD_SD_EESD_SD_EENS9_6detail15normal_iteratorINS9_10device_ptrIiEEEESK_iNS9_4plusIvEENS9_8equal_toIvEEiEE10hipError_tPvRmT2_T3_T4_T5_mT6_T7_P12ihipStream_tbENKUlT_T0_E_clISt17integral_constantIbLb0EES15_EEDaS10_S11_EUlS10_E_NS1_11comp_targetILNS1_3genE10ELNS1_11target_archE1201ELNS1_3gpuE5ELNS1_3repE0EEENS1_30default_config_static_selectorELNS0_4arch9wavefront6targetE0EEEvT1_.has_dyn_sized_stack, 0
	.set _ZN7rocprim17ROCPRIM_400000_NS6detail17trampoline_kernelINS0_14default_configENS1_27scan_by_key_config_selectorImiEEZZNS1_16scan_by_key_implILNS1_25lookback_scan_determinismE0ELb0ES3_N6thrust23THRUST_200600_302600_NS18transform_iteratorI9row_indexNS9_17counting_iteratorImNS9_11use_defaultESD_SD_EESD_SD_EENS9_6detail15normal_iteratorINS9_10device_ptrIiEEEESK_iNS9_4plusIvEENS9_8equal_toIvEEiEE10hipError_tPvRmT2_T3_T4_T5_mT6_T7_P12ihipStream_tbENKUlT_T0_E_clISt17integral_constantIbLb0EES15_EEDaS10_S11_EUlS10_E_NS1_11comp_targetILNS1_3genE10ELNS1_11target_archE1201ELNS1_3gpuE5ELNS1_3repE0EEENS1_30default_config_static_selectorELNS0_4arch9wavefront6targetE0EEEvT1_.has_recursion, 0
	.set _ZN7rocprim17ROCPRIM_400000_NS6detail17trampoline_kernelINS0_14default_configENS1_27scan_by_key_config_selectorImiEEZZNS1_16scan_by_key_implILNS1_25lookback_scan_determinismE0ELb0ES3_N6thrust23THRUST_200600_302600_NS18transform_iteratorI9row_indexNS9_17counting_iteratorImNS9_11use_defaultESD_SD_EESD_SD_EENS9_6detail15normal_iteratorINS9_10device_ptrIiEEEESK_iNS9_4plusIvEENS9_8equal_toIvEEiEE10hipError_tPvRmT2_T3_T4_T5_mT6_T7_P12ihipStream_tbENKUlT_T0_E_clISt17integral_constantIbLb0EES15_EEDaS10_S11_EUlS10_E_NS1_11comp_targetILNS1_3genE10ELNS1_11target_archE1201ELNS1_3gpuE5ELNS1_3repE0EEENS1_30default_config_static_selectorELNS0_4arch9wavefront6targetE0EEEvT1_.has_indirect_call, 0
	.section	.AMDGPU.csdata,"",@progbits
; Kernel info:
; codeLenInByte = 0
; TotalNumSgprs: 0
; NumVgprs: 0
; ScratchSize: 0
; MemoryBound: 0
; FloatMode: 240
; IeeeMode: 1
; LDSByteSize: 0 bytes/workgroup (compile time only)
; SGPRBlocks: 0
; VGPRBlocks: 0
; NumSGPRsForWavesPerEU: 1
; NumVGPRsForWavesPerEU: 1
; Occupancy: 16
; WaveLimiterHint : 0
; COMPUTE_PGM_RSRC2:SCRATCH_EN: 0
; COMPUTE_PGM_RSRC2:USER_SGPR: 6
; COMPUTE_PGM_RSRC2:TRAP_HANDLER: 0
; COMPUTE_PGM_RSRC2:TGID_X_EN: 1
; COMPUTE_PGM_RSRC2:TGID_Y_EN: 0
; COMPUTE_PGM_RSRC2:TGID_Z_EN: 0
; COMPUTE_PGM_RSRC2:TIDIG_COMP_CNT: 0
	.section	.text._ZN7rocprim17ROCPRIM_400000_NS6detail17trampoline_kernelINS0_14default_configENS1_27scan_by_key_config_selectorImiEEZZNS1_16scan_by_key_implILNS1_25lookback_scan_determinismE0ELb0ES3_N6thrust23THRUST_200600_302600_NS18transform_iteratorI9row_indexNS9_17counting_iteratorImNS9_11use_defaultESD_SD_EESD_SD_EENS9_6detail15normal_iteratorINS9_10device_ptrIiEEEESK_iNS9_4plusIvEENS9_8equal_toIvEEiEE10hipError_tPvRmT2_T3_T4_T5_mT6_T7_P12ihipStream_tbENKUlT_T0_E_clISt17integral_constantIbLb0EES15_EEDaS10_S11_EUlS10_E_NS1_11comp_targetILNS1_3genE5ELNS1_11target_archE942ELNS1_3gpuE9ELNS1_3repE0EEENS1_30default_config_static_selectorELNS0_4arch9wavefront6targetE0EEEvT1_,"axG",@progbits,_ZN7rocprim17ROCPRIM_400000_NS6detail17trampoline_kernelINS0_14default_configENS1_27scan_by_key_config_selectorImiEEZZNS1_16scan_by_key_implILNS1_25lookback_scan_determinismE0ELb0ES3_N6thrust23THRUST_200600_302600_NS18transform_iteratorI9row_indexNS9_17counting_iteratorImNS9_11use_defaultESD_SD_EESD_SD_EENS9_6detail15normal_iteratorINS9_10device_ptrIiEEEESK_iNS9_4plusIvEENS9_8equal_toIvEEiEE10hipError_tPvRmT2_T3_T4_T5_mT6_T7_P12ihipStream_tbENKUlT_T0_E_clISt17integral_constantIbLb0EES15_EEDaS10_S11_EUlS10_E_NS1_11comp_targetILNS1_3genE5ELNS1_11target_archE942ELNS1_3gpuE9ELNS1_3repE0EEENS1_30default_config_static_selectorELNS0_4arch9wavefront6targetE0EEEvT1_,comdat
	.protected	_ZN7rocprim17ROCPRIM_400000_NS6detail17trampoline_kernelINS0_14default_configENS1_27scan_by_key_config_selectorImiEEZZNS1_16scan_by_key_implILNS1_25lookback_scan_determinismE0ELb0ES3_N6thrust23THRUST_200600_302600_NS18transform_iteratorI9row_indexNS9_17counting_iteratorImNS9_11use_defaultESD_SD_EESD_SD_EENS9_6detail15normal_iteratorINS9_10device_ptrIiEEEESK_iNS9_4plusIvEENS9_8equal_toIvEEiEE10hipError_tPvRmT2_T3_T4_T5_mT6_T7_P12ihipStream_tbENKUlT_T0_E_clISt17integral_constantIbLb0EES15_EEDaS10_S11_EUlS10_E_NS1_11comp_targetILNS1_3genE5ELNS1_11target_archE942ELNS1_3gpuE9ELNS1_3repE0EEENS1_30default_config_static_selectorELNS0_4arch9wavefront6targetE0EEEvT1_ ; -- Begin function _ZN7rocprim17ROCPRIM_400000_NS6detail17trampoline_kernelINS0_14default_configENS1_27scan_by_key_config_selectorImiEEZZNS1_16scan_by_key_implILNS1_25lookback_scan_determinismE0ELb0ES3_N6thrust23THRUST_200600_302600_NS18transform_iteratorI9row_indexNS9_17counting_iteratorImNS9_11use_defaultESD_SD_EESD_SD_EENS9_6detail15normal_iteratorINS9_10device_ptrIiEEEESK_iNS9_4plusIvEENS9_8equal_toIvEEiEE10hipError_tPvRmT2_T3_T4_T5_mT6_T7_P12ihipStream_tbENKUlT_T0_E_clISt17integral_constantIbLb0EES15_EEDaS10_S11_EUlS10_E_NS1_11comp_targetILNS1_3genE5ELNS1_11target_archE942ELNS1_3gpuE9ELNS1_3repE0EEENS1_30default_config_static_selectorELNS0_4arch9wavefront6targetE0EEEvT1_
	.globl	_ZN7rocprim17ROCPRIM_400000_NS6detail17trampoline_kernelINS0_14default_configENS1_27scan_by_key_config_selectorImiEEZZNS1_16scan_by_key_implILNS1_25lookback_scan_determinismE0ELb0ES3_N6thrust23THRUST_200600_302600_NS18transform_iteratorI9row_indexNS9_17counting_iteratorImNS9_11use_defaultESD_SD_EESD_SD_EENS9_6detail15normal_iteratorINS9_10device_ptrIiEEEESK_iNS9_4plusIvEENS9_8equal_toIvEEiEE10hipError_tPvRmT2_T3_T4_T5_mT6_T7_P12ihipStream_tbENKUlT_T0_E_clISt17integral_constantIbLb0EES15_EEDaS10_S11_EUlS10_E_NS1_11comp_targetILNS1_3genE5ELNS1_11target_archE942ELNS1_3gpuE9ELNS1_3repE0EEENS1_30default_config_static_selectorELNS0_4arch9wavefront6targetE0EEEvT1_
	.p2align	8
	.type	_ZN7rocprim17ROCPRIM_400000_NS6detail17trampoline_kernelINS0_14default_configENS1_27scan_by_key_config_selectorImiEEZZNS1_16scan_by_key_implILNS1_25lookback_scan_determinismE0ELb0ES3_N6thrust23THRUST_200600_302600_NS18transform_iteratorI9row_indexNS9_17counting_iteratorImNS9_11use_defaultESD_SD_EESD_SD_EENS9_6detail15normal_iteratorINS9_10device_ptrIiEEEESK_iNS9_4plusIvEENS9_8equal_toIvEEiEE10hipError_tPvRmT2_T3_T4_T5_mT6_T7_P12ihipStream_tbENKUlT_T0_E_clISt17integral_constantIbLb0EES15_EEDaS10_S11_EUlS10_E_NS1_11comp_targetILNS1_3genE5ELNS1_11target_archE942ELNS1_3gpuE9ELNS1_3repE0EEENS1_30default_config_static_selectorELNS0_4arch9wavefront6targetE0EEEvT1_,@function
_ZN7rocprim17ROCPRIM_400000_NS6detail17trampoline_kernelINS0_14default_configENS1_27scan_by_key_config_selectorImiEEZZNS1_16scan_by_key_implILNS1_25lookback_scan_determinismE0ELb0ES3_N6thrust23THRUST_200600_302600_NS18transform_iteratorI9row_indexNS9_17counting_iteratorImNS9_11use_defaultESD_SD_EESD_SD_EENS9_6detail15normal_iteratorINS9_10device_ptrIiEEEESK_iNS9_4plusIvEENS9_8equal_toIvEEiEE10hipError_tPvRmT2_T3_T4_T5_mT6_T7_P12ihipStream_tbENKUlT_T0_E_clISt17integral_constantIbLb0EES15_EEDaS10_S11_EUlS10_E_NS1_11comp_targetILNS1_3genE5ELNS1_11target_archE942ELNS1_3gpuE9ELNS1_3repE0EEENS1_30default_config_static_selectorELNS0_4arch9wavefront6targetE0EEEvT1_: ; @_ZN7rocprim17ROCPRIM_400000_NS6detail17trampoline_kernelINS0_14default_configENS1_27scan_by_key_config_selectorImiEEZZNS1_16scan_by_key_implILNS1_25lookback_scan_determinismE0ELb0ES3_N6thrust23THRUST_200600_302600_NS18transform_iteratorI9row_indexNS9_17counting_iteratorImNS9_11use_defaultESD_SD_EESD_SD_EENS9_6detail15normal_iteratorINS9_10device_ptrIiEEEESK_iNS9_4plusIvEENS9_8equal_toIvEEiEE10hipError_tPvRmT2_T3_T4_T5_mT6_T7_P12ihipStream_tbENKUlT_T0_E_clISt17integral_constantIbLb0EES15_EEDaS10_S11_EUlS10_E_NS1_11comp_targetILNS1_3genE5ELNS1_11target_archE942ELNS1_3gpuE9ELNS1_3repE0EEENS1_30default_config_static_selectorELNS0_4arch9wavefront6targetE0EEEvT1_
; %bb.0:
	.section	.rodata,"a",@progbits
	.p2align	6, 0x0
	.amdhsa_kernel _ZN7rocprim17ROCPRIM_400000_NS6detail17trampoline_kernelINS0_14default_configENS1_27scan_by_key_config_selectorImiEEZZNS1_16scan_by_key_implILNS1_25lookback_scan_determinismE0ELb0ES3_N6thrust23THRUST_200600_302600_NS18transform_iteratorI9row_indexNS9_17counting_iteratorImNS9_11use_defaultESD_SD_EESD_SD_EENS9_6detail15normal_iteratorINS9_10device_ptrIiEEEESK_iNS9_4plusIvEENS9_8equal_toIvEEiEE10hipError_tPvRmT2_T3_T4_T5_mT6_T7_P12ihipStream_tbENKUlT_T0_E_clISt17integral_constantIbLb0EES15_EEDaS10_S11_EUlS10_E_NS1_11comp_targetILNS1_3genE5ELNS1_11target_archE942ELNS1_3gpuE9ELNS1_3repE0EEENS1_30default_config_static_selectorELNS0_4arch9wavefront6targetE0EEEvT1_
		.amdhsa_group_segment_fixed_size 0
		.amdhsa_private_segment_fixed_size 0
		.amdhsa_kernarg_size 120
		.amdhsa_user_sgpr_count 6
		.amdhsa_user_sgpr_private_segment_buffer 1
		.amdhsa_user_sgpr_dispatch_ptr 0
		.amdhsa_user_sgpr_queue_ptr 0
		.amdhsa_user_sgpr_kernarg_segment_ptr 1
		.amdhsa_user_sgpr_dispatch_id 0
		.amdhsa_user_sgpr_flat_scratch_init 0
		.amdhsa_user_sgpr_private_segment_size 0
		.amdhsa_wavefront_size32 1
		.amdhsa_uses_dynamic_stack 0
		.amdhsa_system_sgpr_private_segment_wavefront_offset 0
		.amdhsa_system_sgpr_workgroup_id_x 1
		.amdhsa_system_sgpr_workgroup_id_y 0
		.amdhsa_system_sgpr_workgroup_id_z 0
		.amdhsa_system_sgpr_workgroup_info 0
		.amdhsa_system_vgpr_workitem_id 0
		.amdhsa_next_free_vgpr 1
		.amdhsa_next_free_sgpr 1
		.amdhsa_reserve_vcc 0
		.amdhsa_reserve_flat_scratch 0
		.amdhsa_float_round_mode_32 0
		.amdhsa_float_round_mode_16_64 0
		.amdhsa_float_denorm_mode_32 3
		.amdhsa_float_denorm_mode_16_64 3
		.amdhsa_dx10_clamp 1
		.amdhsa_ieee_mode 1
		.amdhsa_fp16_overflow 0
		.amdhsa_workgroup_processor_mode 1
		.amdhsa_memory_ordered 1
		.amdhsa_forward_progress 1
		.amdhsa_shared_vgpr_count 0
		.amdhsa_exception_fp_ieee_invalid_op 0
		.amdhsa_exception_fp_denorm_src 0
		.amdhsa_exception_fp_ieee_div_zero 0
		.amdhsa_exception_fp_ieee_overflow 0
		.amdhsa_exception_fp_ieee_underflow 0
		.amdhsa_exception_fp_ieee_inexact 0
		.amdhsa_exception_int_div_zero 0
	.end_amdhsa_kernel
	.section	.text._ZN7rocprim17ROCPRIM_400000_NS6detail17trampoline_kernelINS0_14default_configENS1_27scan_by_key_config_selectorImiEEZZNS1_16scan_by_key_implILNS1_25lookback_scan_determinismE0ELb0ES3_N6thrust23THRUST_200600_302600_NS18transform_iteratorI9row_indexNS9_17counting_iteratorImNS9_11use_defaultESD_SD_EESD_SD_EENS9_6detail15normal_iteratorINS9_10device_ptrIiEEEESK_iNS9_4plusIvEENS9_8equal_toIvEEiEE10hipError_tPvRmT2_T3_T4_T5_mT6_T7_P12ihipStream_tbENKUlT_T0_E_clISt17integral_constantIbLb0EES15_EEDaS10_S11_EUlS10_E_NS1_11comp_targetILNS1_3genE5ELNS1_11target_archE942ELNS1_3gpuE9ELNS1_3repE0EEENS1_30default_config_static_selectorELNS0_4arch9wavefront6targetE0EEEvT1_,"axG",@progbits,_ZN7rocprim17ROCPRIM_400000_NS6detail17trampoline_kernelINS0_14default_configENS1_27scan_by_key_config_selectorImiEEZZNS1_16scan_by_key_implILNS1_25lookback_scan_determinismE0ELb0ES3_N6thrust23THRUST_200600_302600_NS18transform_iteratorI9row_indexNS9_17counting_iteratorImNS9_11use_defaultESD_SD_EESD_SD_EENS9_6detail15normal_iteratorINS9_10device_ptrIiEEEESK_iNS9_4plusIvEENS9_8equal_toIvEEiEE10hipError_tPvRmT2_T3_T4_T5_mT6_T7_P12ihipStream_tbENKUlT_T0_E_clISt17integral_constantIbLb0EES15_EEDaS10_S11_EUlS10_E_NS1_11comp_targetILNS1_3genE5ELNS1_11target_archE942ELNS1_3gpuE9ELNS1_3repE0EEENS1_30default_config_static_selectorELNS0_4arch9wavefront6targetE0EEEvT1_,comdat
.Lfunc_end5:
	.size	_ZN7rocprim17ROCPRIM_400000_NS6detail17trampoline_kernelINS0_14default_configENS1_27scan_by_key_config_selectorImiEEZZNS1_16scan_by_key_implILNS1_25lookback_scan_determinismE0ELb0ES3_N6thrust23THRUST_200600_302600_NS18transform_iteratorI9row_indexNS9_17counting_iteratorImNS9_11use_defaultESD_SD_EESD_SD_EENS9_6detail15normal_iteratorINS9_10device_ptrIiEEEESK_iNS9_4plusIvEENS9_8equal_toIvEEiEE10hipError_tPvRmT2_T3_T4_T5_mT6_T7_P12ihipStream_tbENKUlT_T0_E_clISt17integral_constantIbLb0EES15_EEDaS10_S11_EUlS10_E_NS1_11comp_targetILNS1_3genE5ELNS1_11target_archE942ELNS1_3gpuE9ELNS1_3repE0EEENS1_30default_config_static_selectorELNS0_4arch9wavefront6targetE0EEEvT1_, .Lfunc_end5-_ZN7rocprim17ROCPRIM_400000_NS6detail17trampoline_kernelINS0_14default_configENS1_27scan_by_key_config_selectorImiEEZZNS1_16scan_by_key_implILNS1_25lookback_scan_determinismE0ELb0ES3_N6thrust23THRUST_200600_302600_NS18transform_iteratorI9row_indexNS9_17counting_iteratorImNS9_11use_defaultESD_SD_EESD_SD_EENS9_6detail15normal_iteratorINS9_10device_ptrIiEEEESK_iNS9_4plusIvEENS9_8equal_toIvEEiEE10hipError_tPvRmT2_T3_T4_T5_mT6_T7_P12ihipStream_tbENKUlT_T0_E_clISt17integral_constantIbLb0EES15_EEDaS10_S11_EUlS10_E_NS1_11comp_targetILNS1_3genE5ELNS1_11target_archE942ELNS1_3gpuE9ELNS1_3repE0EEENS1_30default_config_static_selectorELNS0_4arch9wavefront6targetE0EEEvT1_
                                        ; -- End function
	.set _ZN7rocprim17ROCPRIM_400000_NS6detail17trampoline_kernelINS0_14default_configENS1_27scan_by_key_config_selectorImiEEZZNS1_16scan_by_key_implILNS1_25lookback_scan_determinismE0ELb0ES3_N6thrust23THRUST_200600_302600_NS18transform_iteratorI9row_indexNS9_17counting_iteratorImNS9_11use_defaultESD_SD_EESD_SD_EENS9_6detail15normal_iteratorINS9_10device_ptrIiEEEESK_iNS9_4plusIvEENS9_8equal_toIvEEiEE10hipError_tPvRmT2_T3_T4_T5_mT6_T7_P12ihipStream_tbENKUlT_T0_E_clISt17integral_constantIbLb0EES15_EEDaS10_S11_EUlS10_E_NS1_11comp_targetILNS1_3genE5ELNS1_11target_archE942ELNS1_3gpuE9ELNS1_3repE0EEENS1_30default_config_static_selectorELNS0_4arch9wavefront6targetE0EEEvT1_.num_vgpr, 0
	.set _ZN7rocprim17ROCPRIM_400000_NS6detail17trampoline_kernelINS0_14default_configENS1_27scan_by_key_config_selectorImiEEZZNS1_16scan_by_key_implILNS1_25lookback_scan_determinismE0ELb0ES3_N6thrust23THRUST_200600_302600_NS18transform_iteratorI9row_indexNS9_17counting_iteratorImNS9_11use_defaultESD_SD_EESD_SD_EENS9_6detail15normal_iteratorINS9_10device_ptrIiEEEESK_iNS9_4plusIvEENS9_8equal_toIvEEiEE10hipError_tPvRmT2_T3_T4_T5_mT6_T7_P12ihipStream_tbENKUlT_T0_E_clISt17integral_constantIbLb0EES15_EEDaS10_S11_EUlS10_E_NS1_11comp_targetILNS1_3genE5ELNS1_11target_archE942ELNS1_3gpuE9ELNS1_3repE0EEENS1_30default_config_static_selectorELNS0_4arch9wavefront6targetE0EEEvT1_.num_agpr, 0
	.set _ZN7rocprim17ROCPRIM_400000_NS6detail17trampoline_kernelINS0_14default_configENS1_27scan_by_key_config_selectorImiEEZZNS1_16scan_by_key_implILNS1_25lookback_scan_determinismE0ELb0ES3_N6thrust23THRUST_200600_302600_NS18transform_iteratorI9row_indexNS9_17counting_iteratorImNS9_11use_defaultESD_SD_EESD_SD_EENS9_6detail15normal_iteratorINS9_10device_ptrIiEEEESK_iNS9_4plusIvEENS9_8equal_toIvEEiEE10hipError_tPvRmT2_T3_T4_T5_mT6_T7_P12ihipStream_tbENKUlT_T0_E_clISt17integral_constantIbLb0EES15_EEDaS10_S11_EUlS10_E_NS1_11comp_targetILNS1_3genE5ELNS1_11target_archE942ELNS1_3gpuE9ELNS1_3repE0EEENS1_30default_config_static_selectorELNS0_4arch9wavefront6targetE0EEEvT1_.numbered_sgpr, 0
	.set _ZN7rocprim17ROCPRIM_400000_NS6detail17trampoline_kernelINS0_14default_configENS1_27scan_by_key_config_selectorImiEEZZNS1_16scan_by_key_implILNS1_25lookback_scan_determinismE0ELb0ES3_N6thrust23THRUST_200600_302600_NS18transform_iteratorI9row_indexNS9_17counting_iteratorImNS9_11use_defaultESD_SD_EESD_SD_EENS9_6detail15normal_iteratorINS9_10device_ptrIiEEEESK_iNS9_4plusIvEENS9_8equal_toIvEEiEE10hipError_tPvRmT2_T3_T4_T5_mT6_T7_P12ihipStream_tbENKUlT_T0_E_clISt17integral_constantIbLb0EES15_EEDaS10_S11_EUlS10_E_NS1_11comp_targetILNS1_3genE5ELNS1_11target_archE942ELNS1_3gpuE9ELNS1_3repE0EEENS1_30default_config_static_selectorELNS0_4arch9wavefront6targetE0EEEvT1_.num_named_barrier, 0
	.set _ZN7rocprim17ROCPRIM_400000_NS6detail17trampoline_kernelINS0_14default_configENS1_27scan_by_key_config_selectorImiEEZZNS1_16scan_by_key_implILNS1_25lookback_scan_determinismE0ELb0ES3_N6thrust23THRUST_200600_302600_NS18transform_iteratorI9row_indexNS9_17counting_iteratorImNS9_11use_defaultESD_SD_EESD_SD_EENS9_6detail15normal_iteratorINS9_10device_ptrIiEEEESK_iNS9_4plusIvEENS9_8equal_toIvEEiEE10hipError_tPvRmT2_T3_T4_T5_mT6_T7_P12ihipStream_tbENKUlT_T0_E_clISt17integral_constantIbLb0EES15_EEDaS10_S11_EUlS10_E_NS1_11comp_targetILNS1_3genE5ELNS1_11target_archE942ELNS1_3gpuE9ELNS1_3repE0EEENS1_30default_config_static_selectorELNS0_4arch9wavefront6targetE0EEEvT1_.private_seg_size, 0
	.set _ZN7rocprim17ROCPRIM_400000_NS6detail17trampoline_kernelINS0_14default_configENS1_27scan_by_key_config_selectorImiEEZZNS1_16scan_by_key_implILNS1_25lookback_scan_determinismE0ELb0ES3_N6thrust23THRUST_200600_302600_NS18transform_iteratorI9row_indexNS9_17counting_iteratorImNS9_11use_defaultESD_SD_EESD_SD_EENS9_6detail15normal_iteratorINS9_10device_ptrIiEEEESK_iNS9_4plusIvEENS9_8equal_toIvEEiEE10hipError_tPvRmT2_T3_T4_T5_mT6_T7_P12ihipStream_tbENKUlT_T0_E_clISt17integral_constantIbLb0EES15_EEDaS10_S11_EUlS10_E_NS1_11comp_targetILNS1_3genE5ELNS1_11target_archE942ELNS1_3gpuE9ELNS1_3repE0EEENS1_30default_config_static_selectorELNS0_4arch9wavefront6targetE0EEEvT1_.uses_vcc, 0
	.set _ZN7rocprim17ROCPRIM_400000_NS6detail17trampoline_kernelINS0_14default_configENS1_27scan_by_key_config_selectorImiEEZZNS1_16scan_by_key_implILNS1_25lookback_scan_determinismE0ELb0ES3_N6thrust23THRUST_200600_302600_NS18transform_iteratorI9row_indexNS9_17counting_iteratorImNS9_11use_defaultESD_SD_EESD_SD_EENS9_6detail15normal_iteratorINS9_10device_ptrIiEEEESK_iNS9_4plusIvEENS9_8equal_toIvEEiEE10hipError_tPvRmT2_T3_T4_T5_mT6_T7_P12ihipStream_tbENKUlT_T0_E_clISt17integral_constantIbLb0EES15_EEDaS10_S11_EUlS10_E_NS1_11comp_targetILNS1_3genE5ELNS1_11target_archE942ELNS1_3gpuE9ELNS1_3repE0EEENS1_30default_config_static_selectorELNS0_4arch9wavefront6targetE0EEEvT1_.uses_flat_scratch, 0
	.set _ZN7rocprim17ROCPRIM_400000_NS6detail17trampoline_kernelINS0_14default_configENS1_27scan_by_key_config_selectorImiEEZZNS1_16scan_by_key_implILNS1_25lookback_scan_determinismE0ELb0ES3_N6thrust23THRUST_200600_302600_NS18transform_iteratorI9row_indexNS9_17counting_iteratorImNS9_11use_defaultESD_SD_EESD_SD_EENS9_6detail15normal_iteratorINS9_10device_ptrIiEEEESK_iNS9_4plusIvEENS9_8equal_toIvEEiEE10hipError_tPvRmT2_T3_T4_T5_mT6_T7_P12ihipStream_tbENKUlT_T0_E_clISt17integral_constantIbLb0EES15_EEDaS10_S11_EUlS10_E_NS1_11comp_targetILNS1_3genE5ELNS1_11target_archE942ELNS1_3gpuE9ELNS1_3repE0EEENS1_30default_config_static_selectorELNS0_4arch9wavefront6targetE0EEEvT1_.has_dyn_sized_stack, 0
	.set _ZN7rocprim17ROCPRIM_400000_NS6detail17trampoline_kernelINS0_14default_configENS1_27scan_by_key_config_selectorImiEEZZNS1_16scan_by_key_implILNS1_25lookback_scan_determinismE0ELb0ES3_N6thrust23THRUST_200600_302600_NS18transform_iteratorI9row_indexNS9_17counting_iteratorImNS9_11use_defaultESD_SD_EESD_SD_EENS9_6detail15normal_iteratorINS9_10device_ptrIiEEEESK_iNS9_4plusIvEENS9_8equal_toIvEEiEE10hipError_tPvRmT2_T3_T4_T5_mT6_T7_P12ihipStream_tbENKUlT_T0_E_clISt17integral_constantIbLb0EES15_EEDaS10_S11_EUlS10_E_NS1_11comp_targetILNS1_3genE5ELNS1_11target_archE942ELNS1_3gpuE9ELNS1_3repE0EEENS1_30default_config_static_selectorELNS0_4arch9wavefront6targetE0EEEvT1_.has_recursion, 0
	.set _ZN7rocprim17ROCPRIM_400000_NS6detail17trampoline_kernelINS0_14default_configENS1_27scan_by_key_config_selectorImiEEZZNS1_16scan_by_key_implILNS1_25lookback_scan_determinismE0ELb0ES3_N6thrust23THRUST_200600_302600_NS18transform_iteratorI9row_indexNS9_17counting_iteratorImNS9_11use_defaultESD_SD_EESD_SD_EENS9_6detail15normal_iteratorINS9_10device_ptrIiEEEESK_iNS9_4plusIvEENS9_8equal_toIvEEiEE10hipError_tPvRmT2_T3_T4_T5_mT6_T7_P12ihipStream_tbENKUlT_T0_E_clISt17integral_constantIbLb0EES15_EEDaS10_S11_EUlS10_E_NS1_11comp_targetILNS1_3genE5ELNS1_11target_archE942ELNS1_3gpuE9ELNS1_3repE0EEENS1_30default_config_static_selectorELNS0_4arch9wavefront6targetE0EEEvT1_.has_indirect_call, 0
	.section	.AMDGPU.csdata,"",@progbits
; Kernel info:
; codeLenInByte = 0
; TotalNumSgprs: 0
; NumVgprs: 0
; ScratchSize: 0
; MemoryBound: 0
; FloatMode: 240
; IeeeMode: 1
; LDSByteSize: 0 bytes/workgroup (compile time only)
; SGPRBlocks: 0
; VGPRBlocks: 0
; NumSGPRsForWavesPerEU: 1
; NumVGPRsForWavesPerEU: 1
; Occupancy: 16
; WaveLimiterHint : 0
; COMPUTE_PGM_RSRC2:SCRATCH_EN: 0
; COMPUTE_PGM_RSRC2:USER_SGPR: 6
; COMPUTE_PGM_RSRC2:TRAP_HANDLER: 0
; COMPUTE_PGM_RSRC2:TGID_X_EN: 1
; COMPUTE_PGM_RSRC2:TGID_Y_EN: 0
; COMPUTE_PGM_RSRC2:TGID_Z_EN: 0
; COMPUTE_PGM_RSRC2:TIDIG_COMP_CNT: 0
	.section	.text._ZN7rocprim17ROCPRIM_400000_NS6detail17trampoline_kernelINS0_14default_configENS1_27scan_by_key_config_selectorImiEEZZNS1_16scan_by_key_implILNS1_25lookback_scan_determinismE0ELb0ES3_N6thrust23THRUST_200600_302600_NS18transform_iteratorI9row_indexNS9_17counting_iteratorImNS9_11use_defaultESD_SD_EESD_SD_EENS9_6detail15normal_iteratorINS9_10device_ptrIiEEEESK_iNS9_4plusIvEENS9_8equal_toIvEEiEE10hipError_tPvRmT2_T3_T4_T5_mT6_T7_P12ihipStream_tbENKUlT_T0_E_clISt17integral_constantIbLb0EES15_EEDaS10_S11_EUlS10_E_NS1_11comp_targetILNS1_3genE4ELNS1_11target_archE910ELNS1_3gpuE8ELNS1_3repE0EEENS1_30default_config_static_selectorELNS0_4arch9wavefront6targetE0EEEvT1_,"axG",@progbits,_ZN7rocprim17ROCPRIM_400000_NS6detail17trampoline_kernelINS0_14default_configENS1_27scan_by_key_config_selectorImiEEZZNS1_16scan_by_key_implILNS1_25lookback_scan_determinismE0ELb0ES3_N6thrust23THRUST_200600_302600_NS18transform_iteratorI9row_indexNS9_17counting_iteratorImNS9_11use_defaultESD_SD_EESD_SD_EENS9_6detail15normal_iteratorINS9_10device_ptrIiEEEESK_iNS9_4plusIvEENS9_8equal_toIvEEiEE10hipError_tPvRmT2_T3_T4_T5_mT6_T7_P12ihipStream_tbENKUlT_T0_E_clISt17integral_constantIbLb0EES15_EEDaS10_S11_EUlS10_E_NS1_11comp_targetILNS1_3genE4ELNS1_11target_archE910ELNS1_3gpuE8ELNS1_3repE0EEENS1_30default_config_static_selectorELNS0_4arch9wavefront6targetE0EEEvT1_,comdat
	.protected	_ZN7rocprim17ROCPRIM_400000_NS6detail17trampoline_kernelINS0_14default_configENS1_27scan_by_key_config_selectorImiEEZZNS1_16scan_by_key_implILNS1_25lookback_scan_determinismE0ELb0ES3_N6thrust23THRUST_200600_302600_NS18transform_iteratorI9row_indexNS9_17counting_iteratorImNS9_11use_defaultESD_SD_EESD_SD_EENS9_6detail15normal_iteratorINS9_10device_ptrIiEEEESK_iNS9_4plusIvEENS9_8equal_toIvEEiEE10hipError_tPvRmT2_T3_T4_T5_mT6_T7_P12ihipStream_tbENKUlT_T0_E_clISt17integral_constantIbLb0EES15_EEDaS10_S11_EUlS10_E_NS1_11comp_targetILNS1_3genE4ELNS1_11target_archE910ELNS1_3gpuE8ELNS1_3repE0EEENS1_30default_config_static_selectorELNS0_4arch9wavefront6targetE0EEEvT1_ ; -- Begin function _ZN7rocprim17ROCPRIM_400000_NS6detail17trampoline_kernelINS0_14default_configENS1_27scan_by_key_config_selectorImiEEZZNS1_16scan_by_key_implILNS1_25lookback_scan_determinismE0ELb0ES3_N6thrust23THRUST_200600_302600_NS18transform_iteratorI9row_indexNS9_17counting_iteratorImNS9_11use_defaultESD_SD_EESD_SD_EENS9_6detail15normal_iteratorINS9_10device_ptrIiEEEESK_iNS9_4plusIvEENS9_8equal_toIvEEiEE10hipError_tPvRmT2_T3_T4_T5_mT6_T7_P12ihipStream_tbENKUlT_T0_E_clISt17integral_constantIbLb0EES15_EEDaS10_S11_EUlS10_E_NS1_11comp_targetILNS1_3genE4ELNS1_11target_archE910ELNS1_3gpuE8ELNS1_3repE0EEENS1_30default_config_static_selectorELNS0_4arch9wavefront6targetE0EEEvT1_
	.globl	_ZN7rocprim17ROCPRIM_400000_NS6detail17trampoline_kernelINS0_14default_configENS1_27scan_by_key_config_selectorImiEEZZNS1_16scan_by_key_implILNS1_25lookback_scan_determinismE0ELb0ES3_N6thrust23THRUST_200600_302600_NS18transform_iteratorI9row_indexNS9_17counting_iteratorImNS9_11use_defaultESD_SD_EESD_SD_EENS9_6detail15normal_iteratorINS9_10device_ptrIiEEEESK_iNS9_4plusIvEENS9_8equal_toIvEEiEE10hipError_tPvRmT2_T3_T4_T5_mT6_T7_P12ihipStream_tbENKUlT_T0_E_clISt17integral_constantIbLb0EES15_EEDaS10_S11_EUlS10_E_NS1_11comp_targetILNS1_3genE4ELNS1_11target_archE910ELNS1_3gpuE8ELNS1_3repE0EEENS1_30default_config_static_selectorELNS0_4arch9wavefront6targetE0EEEvT1_
	.p2align	8
	.type	_ZN7rocprim17ROCPRIM_400000_NS6detail17trampoline_kernelINS0_14default_configENS1_27scan_by_key_config_selectorImiEEZZNS1_16scan_by_key_implILNS1_25lookback_scan_determinismE0ELb0ES3_N6thrust23THRUST_200600_302600_NS18transform_iteratorI9row_indexNS9_17counting_iteratorImNS9_11use_defaultESD_SD_EESD_SD_EENS9_6detail15normal_iteratorINS9_10device_ptrIiEEEESK_iNS9_4plusIvEENS9_8equal_toIvEEiEE10hipError_tPvRmT2_T3_T4_T5_mT6_T7_P12ihipStream_tbENKUlT_T0_E_clISt17integral_constantIbLb0EES15_EEDaS10_S11_EUlS10_E_NS1_11comp_targetILNS1_3genE4ELNS1_11target_archE910ELNS1_3gpuE8ELNS1_3repE0EEENS1_30default_config_static_selectorELNS0_4arch9wavefront6targetE0EEEvT1_,@function
_ZN7rocprim17ROCPRIM_400000_NS6detail17trampoline_kernelINS0_14default_configENS1_27scan_by_key_config_selectorImiEEZZNS1_16scan_by_key_implILNS1_25lookback_scan_determinismE0ELb0ES3_N6thrust23THRUST_200600_302600_NS18transform_iteratorI9row_indexNS9_17counting_iteratorImNS9_11use_defaultESD_SD_EESD_SD_EENS9_6detail15normal_iteratorINS9_10device_ptrIiEEEESK_iNS9_4plusIvEENS9_8equal_toIvEEiEE10hipError_tPvRmT2_T3_T4_T5_mT6_T7_P12ihipStream_tbENKUlT_T0_E_clISt17integral_constantIbLb0EES15_EEDaS10_S11_EUlS10_E_NS1_11comp_targetILNS1_3genE4ELNS1_11target_archE910ELNS1_3gpuE8ELNS1_3repE0EEENS1_30default_config_static_selectorELNS0_4arch9wavefront6targetE0EEEvT1_: ; @_ZN7rocprim17ROCPRIM_400000_NS6detail17trampoline_kernelINS0_14default_configENS1_27scan_by_key_config_selectorImiEEZZNS1_16scan_by_key_implILNS1_25lookback_scan_determinismE0ELb0ES3_N6thrust23THRUST_200600_302600_NS18transform_iteratorI9row_indexNS9_17counting_iteratorImNS9_11use_defaultESD_SD_EESD_SD_EENS9_6detail15normal_iteratorINS9_10device_ptrIiEEEESK_iNS9_4plusIvEENS9_8equal_toIvEEiEE10hipError_tPvRmT2_T3_T4_T5_mT6_T7_P12ihipStream_tbENKUlT_T0_E_clISt17integral_constantIbLb0EES15_EEDaS10_S11_EUlS10_E_NS1_11comp_targetILNS1_3genE4ELNS1_11target_archE910ELNS1_3gpuE8ELNS1_3repE0EEENS1_30default_config_static_selectorELNS0_4arch9wavefront6targetE0EEEvT1_
; %bb.0:
	.section	.rodata,"a",@progbits
	.p2align	6, 0x0
	.amdhsa_kernel _ZN7rocprim17ROCPRIM_400000_NS6detail17trampoline_kernelINS0_14default_configENS1_27scan_by_key_config_selectorImiEEZZNS1_16scan_by_key_implILNS1_25lookback_scan_determinismE0ELb0ES3_N6thrust23THRUST_200600_302600_NS18transform_iteratorI9row_indexNS9_17counting_iteratorImNS9_11use_defaultESD_SD_EESD_SD_EENS9_6detail15normal_iteratorINS9_10device_ptrIiEEEESK_iNS9_4plusIvEENS9_8equal_toIvEEiEE10hipError_tPvRmT2_T3_T4_T5_mT6_T7_P12ihipStream_tbENKUlT_T0_E_clISt17integral_constantIbLb0EES15_EEDaS10_S11_EUlS10_E_NS1_11comp_targetILNS1_3genE4ELNS1_11target_archE910ELNS1_3gpuE8ELNS1_3repE0EEENS1_30default_config_static_selectorELNS0_4arch9wavefront6targetE0EEEvT1_
		.amdhsa_group_segment_fixed_size 0
		.amdhsa_private_segment_fixed_size 0
		.amdhsa_kernarg_size 120
		.amdhsa_user_sgpr_count 6
		.amdhsa_user_sgpr_private_segment_buffer 1
		.amdhsa_user_sgpr_dispatch_ptr 0
		.amdhsa_user_sgpr_queue_ptr 0
		.amdhsa_user_sgpr_kernarg_segment_ptr 1
		.amdhsa_user_sgpr_dispatch_id 0
		.amdhsa_user_sgpr_flat_scratch_init 0
		.amdhsa_user_sgpr_private_segment_size 0
		.amdhsa_wavefront_size32 1
		.amdhsa_uses_dynamic_stack 0
		.amdhsa_system_sgpr_private_segment_wavefront_offset 0
		.amdhsa_system_sgpr_workgroup_id_x 1
		.amdhsa_system_sgpr_workgroup_id_y 0
		.amdhsa_system_sgpr_workgroup_id_z 0
		.amdhsa_system_sgpr_workgroup_info 0
		.amdhsa_system_vgpr_workitem_id 0
		.amdhsa_next_free_vgpr 1
		.amdhsa_next_free_sgpr 1
		.amdhsa_reserve_vcc 0
		.amdhsa_reserve_flat_scratch 0
		.amdhsa_float_round_mode_32 0
		.amdhsa_float_round_mode_16_64 0
		.amdhsa_float_denorm_mode_32 3
		.amdhsa_float_denorm_mode_16_64 3
		.amdhsa_dx10_clamp 1
		.amdhsa_ieee_mode 1
		.amdhsa_fp16_overflow 0
		.amdhsa_workgroup_processor_mode 1
		.amdhsa_memory_ordered 1
		.amdhsa_forward_progress 1
		.amdhsa_shared_vgpr_count 0
		.amdhsa_exception_fp_ieee_invalid_op 0
		.amdhsa_exception_fp_denorm_src 0
		.amdhsa_exception_fp_ieee_div_zero 0
		.amdhsa_exception_fp_ieee_overflow 0
		.amdhsa_exception_fp_ieee_underflow 0
		.amdhsa_exception_fp_ieee_inexact 0
		.amdhsa_exception_int_div_zero 0
	.end_amdhsa_kernel
	.section	.text._ZN7rocprim17ROCPRIM_400000_NS6detail17trampoline_kernelINS0_14default_configENS1_27scan_by_key_config_selectorImiEEZZNS1_16scan_by_key_implILNS1_25lookback_scan_determinismE0ELb0ES3_N6thrust23THRUST_200600_302600_NS18transform_iteratorI9row_indexNS9_17counting_iteratorImNS9_11use_defaultESD_SD_EESD_SD_EENS9_6detail15normal_iteratorINS9_10device_ptrIiEEEESK_iNS9_4plusIvEENS9_8equal_toIvEEiEE10hipError_tPvRmT2_T3_T4_T5_mT6_T7_P12ihipStream_tbENKUlT_T0_E_clISt17integral_constantIbLb0EES15_EEDaS10_S11_EUlS10_E_NS1_11comp_targetILNS1_3genE4ELNS1_11target_archE910ELNS1_3gpuE8ELNS1_3repE0EEENS1_30default_config_static_selectorELNS0_4arch9wavefront6targetE0EEEvT1_,"axG",@progbits,_ZN7rocprim17ROCPRIM_400000_NS6detail17trampoline_kernelINS0_14default_configENS1_27scan_by_key_config_selectorImiEEZZNS1_16scan_by_key_implILNS1_25lookback_scan_determinismE0ELb0ES3_N6thrust23THRUST_200600_302600_NS18transform_iteratorI9row_indexNS9_17counting_iteratorImNS9_11use_defaultESD_SD_EESD_SD_EENS9_6detail15normal_iteratorINS9_10device_ptrIiEEEESK_iNS9_4plusIvEENS9_8equal_toIvEEiEE10hipError_tPvRmT2_T3_T4_T5_mT6_T7_P12ihipStream_tbENKUlT_T0_E_clISt17integral_constantIbLb0EES15_EEDaS10_S11_EUlS10_E_NS1_11comp_targetILNS1_3genE4ELNS1_11target_archE910ELNS1_3gpuE8ELNS1_3repE0EEENS1_30default_config_static_selectorELNS0_4arch9wavefront6targetE0EEEvT1_,comdat
.Lfunc_end6:
	.size	_ZN7rocprim17ROCPRIM_400000_NS6detail17trampoline_kernelINS0_14default_configENS1_27scan_by_key_config_selectorImiEEZZNS1_16scan_by_key_implILNS1_25lookback_scan_determinismE0ELb0ES3_N6thrust23THRUST_200600_302600_NS18transform_iteratorI9row_indexNS9_17counting_iteratorImNS9_11use_defaultESD_SD_EESD_SD_EENS9_6detail15normal_iteratorINS9_10device_ptrIiEEEESK_iNS9_4plusIvEENS9_8equal_toIvEEiEE10hipError_tPvRmT2_T3_T4_T5_mT6_T7_P12ihipStream_tbENKUlT_T0_E_clISt17integral_constantIbLb0EES15_EEDaS10_S11_EUlS10_E_NS1_11comp_targetILNS1_3genE4ELNS1_11target_archE910ELNS1_3gpuE8ELNS1_3repE0EEENS1_30default_config_static_selectorELNS0_4arch9wavefront6targetE0EEEvT1_, .Lfunc_end6-_ZN7rocprim17ROCPRIM_400000_NS6detail17trampoline_kernelINS0_14default_configENS1_27scan_by_key_config_selectorImiEEZZNS1_16scan_by_key_implILNS1_25lookback_scan_determinismE0ELb0ES3_N6thrust23THRUST_200600_302600_NS18transform_iteratorI9row_indexNS9_17counting_iteratorImNS9_11use_defaultESD_SD_EESD_SD_EENS9_6detail15normal_iteratorINS9_10device_ptrIiEEEESK_iNS9_4plusIvEENS9_8equal_toIvEEiEE10hipError_tPvRmT2_T3_T4_T5_mT6_T7_P12ihipStream_tbENKUlT_T0_E_clISt17integral_constantIbLb0EES15_EEDaS10_S11_EUlS10_E_NS1_11comp_targetILNS1_3genE4ELNS1_11target_archE910ELNS1_3gpuE8ELNS1_3repE0EEENS1_30default_config_static_selectorELNS0_4arch9wavefront6targetE0EEEvT1_
                                        ; -- End function
	.set _ZN7rocprim17ROCPRIM_400000_NS6detail17trampoline_kernelINS0_14default_configENS1_27scan_by_key_config_selectorImiEEZZNS1_16scan_by_key_implILNS1_25lookback_scan_determinismE0ELb0ES3_N6thrust23THRUST_200600_302600_NS18transform_iteratorI9row_indexNS9_17counting_iteratorImNS9_11use_defaultESD_SD_EESD_SD_EENS9_6detail15normal_iteratorINS9_10device_ptrIiEEEESK_iNS9_4plusIvEENS9_8equal_toIvEEiEE10hipError_tPvRmT2_T3_T4_T5_mT6_T7_P12ihipStream_tbENKUlT_T0_E_clISt17integral_constantIbLb0EES15_EEDaS10_S11_EUlS10_E_NS1_11comp_targetILNS1_3genE4ELNS1_11target_archE910ELNS1_3gpuE8ELNS1_3repE0EEENS1_30default_config_static_selectorELNS0_4arch9wavefront6targetE0EEEvT1_.num_vgpr, 0
	.set _ZN7rocprim17ROCPRIM_400000_NS6detail17trampoline_kernelINS0_14default_configENS1_27scan_by_key_config_selectorImiEEZZNS1_16scan_by_key_implILNS1_25lookback_scan_determinismE0ELb0ES3_N6thrust23THRUST_200600_302600_NS18transform_iteratorI9row_indexNS9_17counting_iteratorImNS9_11use_defaultESD_SD_EESD_SD_EENS9_6detail15normal_iteratorINS9_10device_ptrIiEEEESK_iNS9_4plusIvEENS9_8equal_toIvEEiEE10hipError_tPvRmT2_T3_T4_T5_mT6_T7_P12ihipStream_tbENKUlT_T0_E_clISt17integral_constantIbLb0EES15_EEDaS10_S11_EUlS10_E_NS1_11comp_targetILNS1_3genE4ELNS1_11target_archE910ELNS1_3gpuE8ELNS1_3repE0EEENS1_30default_config_static_selectorELNS0_4arch9wavefront6targetE0EEEvT1_.num_agpr, 0
	.set _ZN7rocprim17ROCPRIM_400000_NS6detail17trampoline_kernelINS0_14default_configENS1_27scan_by_key_config_selectorImiEEZZNS1_16scan_by_key_implILNS1_25lookback_scan_determinismE0ELb0ES3_N6thrust23THRUST_200600_302600_NS18transform_iteratorI9row_indexNS9_17counting_iteratorImNS9_11use_defaultESD_SD_EESD_SD_EENS9_6detail15normal_iteratorINS9_10device_ptrIiEEEESK_iNS9_4plusIvEENS9_8equal_toIvEEiEE10hipError_tPvRmT2_T3_T4_T5_mT6_T7_P12ihipStream_tbENKUlT_T0_E_clISt17integral_constantIbLb0EES15_EEDaS10_S11_EUlS10_E_NS1_11comp_targetILNS1_3genE4ELNS1_11target_archE910ELNS1_3gpuE8ELNS1_3repE0EEENS1_30default_config_static_selectorELNS0_4arch9wavefront6targetE0EEEvT1_.numbered_sgpr, 0
	.set _ZN7rocprim17ROCPRIM_400000_NS6detail17trampoline_kernelINS0_14default_configENS1_27scan_by_key_config_selectorImiEEZZNS1_16scan_by_key_implILNS1_25lookback_scan_determinismE0ELb0ES3_N6thrust23THRUST_200600_302600_NS18transform_iteratorI9row_indexNS9_17counting_iteratorImNS9_11use_defaultESD_SD_EESD_SD_EENS9_6detail15normal_iteratorINS9_10device_ptrIiEEEESK_iNS9_4plusIvEENS9_8equal_toIvEEiEE10hipError_tPvRmT2_T3_T4_T5_mT6_T7_P12ihipStream_tbENKUlT_T0_E_clISt17integral_constantIbLb0EES15_EEDaS10_S11_EUlS10_E_NS1_11comp_targetILNS1_3genE4ELNS1_11target_archE910ELNS1_3gpuE8ELNS1_3repE0EEENS1_30default_config_static_selectorELNS0_4arch9wavefront6targetE0EEEvT1_.num_named_barrier, 0
	.set _ZN7rocprim17ROCPRIM_400000_NS6detail17trampoline_kernelINS0_14default_configENS1_27scan_by_key_config_selectorImiEEZZNS1_16scan_by_key_implILNS1_25lookback_scan_determinismE0ELb0ES3_N6thrust23THRUST_200600_302600_NS18transform_iteratorI9row_indexNS9_17counting_iteratorImNS9_11use_defaultESD_SD_EESD_SD_EENS9_6detail15normal_iteratorINS9_10device_ptrIiEEEESK_iNS9_4plusIvEENS9_8equal_toIvEEiEE10hipError_tPvRmT2_T3_T4_T5_mT6_T7_P12ihipStream_tbENKUlT_T0_E_clISt17integral_constantIbLb0EES15_EEDaS10_S11_EUlS10_E_NS1_11comp_targetILNS1_3genE4ELNS1_11target_archE910ELNS1_3gpuE8ELNS1_3repE0EEENS1_30default_config_static_selectorELNS0_4arch9wavefront6targetE0EEEvT1_.private_seg_size, 0
	.set _ZN7rocprim17ROCPRIM_400000_NS6detail17trampoline_kernelINS0_14default_configENS1_27scan_by_key_config_selectorImiEEZZNS1_16scan_by_key_implILNS1_25lookback_scan_determinismE0ELb0ES3_N6thrust23THRUST_200600_302600_NS18transform_iteratorI9row_indexNS9_17counting_iteratorImNS9_11use_defaultESD_SD_EESD_SD_EENS9_6detail15normal_iteratorINS9_10device_ptrIiEEEESK_iNS9_4plusIvEENS9_8equal_toIvEEiEE10hipError_tPvRmT2_T3_T4_T5_mT6_T7_P12ihipStream_tbENKUlT_T0_E_clISt17integral_constantIbLb0EES15_EEDaS10_S11_EUlS10_E_NS1_11comp_targetILNS1_3genE4ELNS1_11target_archE910ELNS1_3gpuE8ELNS1_3repE0EEENS1_30default_config_static_selectorELNS0_4arch9wavefront6targetE0EEEvT1_.uses_vcc, 0
	.set _ZN7rocprim17ROCPRIM_400000_NS6detail17trampoline_kernelINS0_14default_configENS1_27scan_by_key_config_selectorImiEEZZNS1_16scan_by_key_implILNS1_25lookback_scan_determinismE0ELb0ES3_N6thrust23THRUST_200600_302600_NS18transform_iteratorI9row_indexNS9_17counting_iteratorImNS9_11use_defaultESD_SD_EESD_SD_EENS9_6detail15normal_iteratorINS9_10device_ptrIiEEEESK_iNS9_4plusIvEENS9_8equal_toIvEEiEE10hipError_tPvRmT2_T3_T4_T5_mT6_T7_P12ihipStream_tbENKUlT_T0_E_clISt17integral_constantIbLb0EES15_EEDaS10_S11_EUlS10_E_NS1_11comp_targetILNS1_3genE4ELNS1_11target_archE910ELNS1_3gpuE8ELNS1_3repE0EEENS1_30default_config_static_selectorELNS0_4arch9wavefront6targetE0EEEvT1_.uses_flat_scratch, 0
	.set _ZN7rocprim17ROCPRIM_400000_NS6detail17trampoline_kernelINS0_14default_configENS1_27scan_by_key_config_selectorImiEEZZNS1_16scan_by_key_implILNS1_25lookback_scan_determinismE0ELb0ES3_N6thrust23THRUST_200600_302600_NS18transform_iteratorI9row_indexNS9_17counting_iteratorImNS9_11use_defaultESD_SD_EESD_SD_EENS9_6detail15normal_iteratorINS9_10device_ptrIiEEEESK_iNS9_4plusIvEENS9_8equal_toIvEEiEE10hipError_tPvRmT2_T3_T4_T5_mT6_T7_P12ihipStream_tbENKUlT_T0_E_clISt17integral_constantIbLb0EES15_EEDaS10_S11_EUlS10_E_NS1_11comp_targetILNS1_3genE4ELNS1_11target_archE910ELNS1_3gpuE8ELNS1_3repE0EEENS1_30default_config_static_selectorELNS0_4arch9wavefront6targetE0EEEvT1_.has_dyn_sized_stack, 0
	.set _ZN7rocprim17ROCPRIM_400000_NS6detail17trampoline_kernelINS0_14default_configENS1_27scan_by_key_config_selectorImiEEZZNS1_16scan_by_key_implILNS1_25lookback_scan_determinismE0ELb0ES3_N6thrust23THRUST_200600_302600_NS18transform_iteratorI9row_indexNS9_17counting_iteratorImNS9_11use_defaultESD_SD_EESD_SD_EENS9_6detail15normal_iteratorINS9_10device_ptrIiEEEESK_iNS9_4plusIvEENS9_8equal_toIvEEiEE10hipError_tPvRmT2_T3_T4_T5_mT6_T7_P12ihipStream_tbENKUlT_T0_E_clISt17integral_constantIbLb0EES15_EEDaS10_S11_EUlS10_E_NS1_11comp_targetILNS1_3genE4ELNS1_11target_archE910ELNS1_3gpuE8ELNS1_3repE0EEENS1_30default_config_static_selectorELNS0_4arch9wavefront6targetE0EEEvT1_.has_recursion, 0
	.set _ZN7rocprim17ROCPRIM_400000_NS6detail17trampoline_kernelINS0_14default_configENS1_27scan_by_key_config_selectorImiEEZZNS1_16scan_by_key_implILNS1_25lookback_scan_determinismE0ELb0ES3_N6thrust23THRUST_200600_302600_NS18transform_iteratorI9row_indexNS9_17counting_iteratorImNS9_11use_defaultESD_SD_EESD_SD_EENS9_6detail15normal_iteratorINS9_10device_ptrIiEEEESK_iNS9_4plusIvEENS9_8equal_toIvEEiEE10hipError_tPvRmT2_T3_T4_T5_mT6_T7_P12ihipStream_tbENKUlT_T0_E_clISt17integral_constantIbLb0EES15_EEDaS10_S11_EUlS10_E_NS1_11comp_targetILNS1_3genE4ELNS1_11target_archE910ELNS1_3gpuE8ELNS1_3repE0EEENS1_30default_config_static_selectorELNS0_4arch9wavefront6targetE0EEEvT1_.has_indirect_call, 0
	.section	.AMDGPU.csdata,"",@progbits
; Kernel info:
; codeLenInByte = 0
; TotalNumSgprs: 0
; NumVgprs: 0
; ScratchSize: 0
; MemoryBound: 0
; FloatMode: 240
; IeeeMode: 1
; LDSByteSize: 0 bytes/workgroup (compile time only)
; SGPRBlocks: 0
; VGPRBlocks: 0
; NumSGPRsForWavesPerEU: 1
; NumVGPRsForWavesPerEU: 1
; Occupancy: 16
; WaveLimiterHint : 0
; COMPUTE_PGM_RSRC2:SCRATCH_EN: 0
; COMPUTE_PGM_RSRC2:USER_SGPR: 6
; COMPUTE_PGM_RSRC2:TRAP_HANDLER: 0
; COMPUTE_PGM_RSRC2:TGID_X_EN: 1
; COMPUTE_PGM_RSRC2:TGID_Y_EN: 0
; COMPUTE_PGM_RSRC2:TGID_Z_EN: 0
; COMPUTE_PGM_RSRC2:TIDIG_COMP_CNT: 0
	.section	.text._ZN7rocprim17ROCPRIM_400000_NS6detail17trampoline_kernelINS0_14default_configENS1_27scan_by_key_config_selectorImiEEZZNS1_16scan_by_key_implILNS1_25lookback_scan_determinismE0ELb0ES3_N6thrust23THRUST_200600_302600_NS18transform_iteratorI9row_indexNS9_17counting_iteratorImNS9_11use_defaultESD_SD_EESD_SD_EENS9_6detail15normal_iteratorINS9_10device_ptrIiEEEESK_iNS9_4plusIvEENS9_8equal_toIvEEiEE10hipError_tPvRmT2_T3_T4_T5_mT6_T7_P12ihipStream_tbENKUlT_T0_E_clISt17integral_constantIbLb0EES15_EEDaS10_S11_EUlS10_E_NS1_11comp_targetILNS1_3genE3ELNS1_11target_archE908ELNS1_3gpuE7ELNS1_3repE0EEENS1_30default_config_static_selectorELNS0_4arch9wavefront6targetE0EEEvT1_,"axG",@progbits,_ZN7rocprim17ROCPRIM_400000_NS6detail17trampoline_kernelINS0_14default_configENS1_27scan_by_key_config_selectorImiEEZZNS1_16scan_by_key_implILNS1_25lookback_scan_determinismE0ELb0ES3_N6thrust23THRUST_200600_302600_NS18transform_iteratorI9row_indexNS9_17counting_iteratorImNS9_11use_defaultESD_SD_EESD_SD_EENS9_6detail15normal_iteratorINS9_10device_ptrIiEEEESK_iNS9_4plusIvEENS9_8equal_toIvEEiEE10hipError_tPvRmT2_T3_T4_T5_mT6_T7_P12ihipStream_tbENKUlT_T0_E_clISt17integral_constantIbLb0EES15_EEDaS10_S11_EUlS10_E_NS1_11comp_targetILNS1_3genE3ELNS1_11target_archE908ELNS1_3gpuE7ELNS1_3repE0EEENS1_30default_config_static_selectorELNS0_4arch9wavefront6targetE0EEEvT1_,comdat
	.protected	_ZN7rocprim17ROCPRIM_400000_NS6detail17trampoline_kernelINS0_14default_configENS1_27scan_by_key_config_selectorImiEEZZNS1_16scan_by_key_implILNS1_25lookback_scan_determinismE0ELb0ES3_N6thrust23THRUST_200600_302600_NS18transform_iteratorI9row_indexNS9_17counting_iteratorImNS9_11use_defaultESD_SD_EESD_SD_EENS9_6detail15normal_iteratorINS9_10device_ptrIiEEEESK_iNS9_4plusIvEENS9_8equal_toIvEEiEE10hipError_tPvRmT2_T3_T4_T5_mT6_T7_P12ihipStream_tbENKUlT_T0_E_clISt17integral_constantIbLb0EES15_EEDaS10_S11_EUlS10_E_NS1_11comp_targetILNS1_3genE3ELNS1_11target_archE908ELNS1_3gpuE7ELNS1_3repE0EEENS1_30default_config_static_selectorELNS0_4arch9wavefront6targetE0EEEvT1_ ; -- Begin function _ZN7rocprim17ROCPRIM_400000_NS6detail17trampoline_kernelINS0_14default_configENS1_27scan_by_key_config_selectorImiEEZZNS1_16scan_by_key_implILNS1_25lookback_scan_determinismE0ELb0ES3_N6thrust23THRUST_200600_302600_NS18transform_iteratorI9row_indexNS9_17counting_iteratorImNS9_11use_defaultESD_SD_EESD_SD_EENS9_6detail15normal_iteratorINS9_10device_ptrIiEEEESK_iNS9_4plusIvEENS9_8equal_toIvEEiEE10hipError_tPvRmT2_T3_T4_T5_mT6_T7_P12ihipStream_tbENKUlT_T0_E_clISt17integral_constantIbLb0EES15_EEDaS10_S11_EUlS10_E_NS1_11comp_targetILNS1_3genE3ELNS1_11target_archE908ELNS1_3gpuE7ELNS1_3repE0EEENS1_30default_config_static_selectorELNS0_4arch9wavefront6targetE0EEEvT1_
	.globl	_ZN7rocprim17ROCPRIM_400000_NS6detail17trampoline_kernelINS0_14default_configENS1_27scan_by_key_config_selectorImiEEZZNS1_16scan_by_key_implILNS1_25lookback_scan_determinismE0ELb0ES3_N6thrust23THRUST_200600_302600_NS18transform_iteratorI9row_indexNS9_17counting_iteratorImNS9_11use_defaultESD_SD_EESD_SD_EENS9_6detail15normal_iteratorINS9_10device_ptrIiEEEESK_iNS9_4plusIvEENS9_8equal_toIvEEiEE10hipError_tPvRmT2_T3_T4_T5_mT6_T7_P12ihipStream_tbENKUlT_T0_E_clISt17integral_constantIbLb0EES15_EEDaS10_S11_EUlS10_E_NS1_11comp_targetILNS1_3genE3ELNS1_11target_archE908ELNS1_3gpuE7ELNS1_3repE0EEENS1_30default_config_static_selectorELNS0_4arch9wavefront6targetE0EEEvT1_
	.p2align	8
	.type	_ZN7rocprim17ROCPRIM_400000_NS6detail17trampoline_kernelINS0_14default_configENS1_27scan_by_key_config_selectorImiEEZZNS1_16scan_by_key_implILNS1_25lookback_scan_determinismE0ELb0ES3_N6thrust23THRUST_200600_302600_NS18transform_iteratorI9row_indexNS9_17counting_iteratorImNS9_11use_defaultESD_SD_EESD_SD_EENS9_6detail15normal_iteratorINS9_10device_ptrIiEEEESK_iNS9_4plusIvEENS9_8equal_toIvEEiEE10hipError_tPvRmT2_T3_T4_T5_mT6_T7_P12ihipStream_tbENKUlT_T0_E_clISt17integral_constantIbLb0EES15_EEDaS10_S11_EUlS10_E_NS1_11comp_targetILNS1_3genE3ELNS1_11target_archE908ELNS1_3gpuE7ELNS1_3repE0EEENS1_30default_config_static_selectorELNS0_4arch9wavefront6targetE0EEEvT1_,@function
_ZN7rocprim17ROCPRIM_400000_NS6detail17trampoline_kernelINS0_14default_configENS1_27scan_by_key_config_selectorImiEEZZNS1_16scan_by_key_implILNS1_25lookback_scan_determinismE0ELb0ES3_N6thrust23THRUST_200600_302600_NS18transform_iteratorI9row_indexNS9_17counting_iteratorImNS9_11use_defaultESD_SD_EESD_SD_EENS9_6detail15normal_iteratorINS9_10device_ptrIiEEEESK_iNS9_4plusIvEENS9_8equal_toIvEEiEE10hipError_tPvRmT2_T3_T4_T5_mT6_T7_P12ihipStream_tbENKUlT_T0_E_clISt17integral_constantIbLb0EES15_EEDaS10_S11_EUlS10_E_NS1_11comp_targetILNS1_3genE3ELNS1_11target_archE908ELNS1_3gpuE7ELNS1_3repE0EEENS1_30default_config_static_selectorELNS0_4arch9wavefront6targetE0EEEvT1_: ; @_ZN7rocprim17ROCPRIM_400000_NS6detail17trampoline_kernelINS0_14default_configENS1_27scan_by_key_config_selectorImiEEZZNS1_16scan_by_key_implILNS1_25lookback_scan_determinismE0ELb0ES3_N6thrust23THRUST_200600_302600_NS18transform_iteratorI9row_indexNS9_17counting_iteratorImNS9_11use_defaultESD_SD_EESD_SD_EENS9_6detail15normal_iteratorINS9_10device_ptrIiEEEESK_iNS9_4plusIvEENS9_8equal_toIvEEiEE10hipError_tPvRmT2_T3_T4_T5_mT6_T7_P12ihipStream_tbENKUlT_T0_E_clISt17integral_constantIbLb0EES15_EEDaS10_S11_EUlS10_E_NS1_11comp_targetILNS1_3genE3ELNS1_11target_archE908ELNS1_3gpuE7ELNS1_3repE0EEENS1_30default_config_static_selectorELNS0_4arch9wavefront6targetE0EEEvT1_
; %bb.0:
	.section	.rodata,"a",@progbits
	.p2align	6, 0x0
	.amdhsa_kernel _ZN7rocprim17ROCPRIM_400000_NS6detail17trampoline_kernelINS0_14default_configENS1_27scan_by_key_config_selectorImiEEZZNS1_16scan_by_key_implILNS1_25lookback_scan_determinismE0ELb0ES3_N6thrust23THRUST_200600_302600_NS18transform_iteratorI9row_indexNS9_17counting_iteratorImNS9_11use_defaultESD_SD_EESD_SD_EENS9_6detail15normal_iteratorINS9_10device_ptrIiEEEESK_iNS9_4plusIvEENS9_8equal_toIvEEiEE10hipError_tPvRmT2_T3_T4_T5_mT6_T7_P12ihipStream_tbENKUlT_T0_E_clISt17integral_constantIbLb0EES15_EEDaS10_S11_EUlS10_E_NS1_11comp_targetILNS1_3genE3ELNS1_11target_archE908ELNS1_3gpuE7ELNS1_3repE0EEENS1_30default_config_static_selectorELNS0_4arch9wavefront6targetE0EEEvT1_
		.amdhsa_group_segment_fixed_size 0
		.amdhsa_private_segment_fixed_size 0
		.amdhsa_kernarg_size 120
		.amdhsa_user_sgpr_count 6
		.amdhsa_user_sgpr_private_segment_buffer 1
		.amdhsa_user_sgpr_dispatch_ptr 0
		.amdhsa_user_sgpr_queue_ptr 0
		.amdhsa_user_sgpr_kernarg_segment_ptr 1
		.amdhsa_user_sgpr_dispatch_id 0
		.amdhsa_user_sgpr_flat_scratch_init 0
		.amdhsa_user_sgpr_private_segment_size 0
		.amdhsa_wavefront_size32 1
		.amdhsa_uses_dynamic_stack 0
		.amdhsa_system_sgpr_private_segment_wavefront_offset 0
		.amdhsa_system_sgpr_workgroup_id_x 1
		.amdhsa_system_sgpr_workgroup_id_y 0
		.amdhsa_system_sgpr_workgroup_id_z 0
		.amdhsa_system_sgpr_workgroup_info 0
		.amdhsa_system_vgpr_workitem_id 0
		.amdhsa_next_free_vgpr 1
		.amdhsa_next_free_sgpr 1
		.amdhsa_reserve_vcc 0
		.amdhsa_reserve_flat_scratch 0
		.amdhsa_float_round_mode_32 0
		.amdhsa_float_round_mode_16_64 0
		.amdhsa_float_denorm_mode_32 3
		.amdhsa_float_denorm_mode_16_64 3
		.amdhsa_dx10_clamp 1
		.amdhsa_ieee_mode 1
		.amdhsa_fp16_overflow 0
		.amdhsa_workgroup_processor_mode 1
		.amdhsa_memory_ordered 1
		.amdhsa_forward_progress 1
		.amdhsa_shared_vgpr_count 0
		.amdhsa_exception_fp_ieee_invalid_op 0
		.amdhsa_exception_fp_denorm_src 0
		.amdhsa_exception_fp_ieee_div_zero 0
		.amdhsa_exception_fp_ieee_overflow 0
		.amdhsa_exception_fp_ieee_underflow 0
		.amdhsa_exception_fp_ieee_inexact 0
		.amdhsa_exception_int_div_zero 0
	.end_amdhsa_kernel
	.section	.text._ZN7rocprim17ROCPRIM_400000_NS6detail17trampoline_kernelINS0_14default_configENS1_27scan_by_key_config_selectorImiEEZZNS1_16scan_by_key_implILNS1_25lookback_scan_determinismE0ELb0ES3_N6thrust23THRUST_200600_302600_NS18transform_iteratorI9row_indexNS9_17counting_iteratorImNS9_11use_defaultESD_SD_EESD_SD_EENS9_6detail15normal_iteratorINS9_10device_ptrIiEEEESK_iNS9_4plusIvEENS9_8equal_toIvEEiEE10hipError_tPvRmT2_T3_T4_T5_mT6_T7_P12ihipStream_tbENKUlT_T0_E_clISt17integral_constantIbLb0EES15_EEDaS10_S11_EUlS10_E_NS1_11comp_targetILNS1_3genE3ELNS1_11target_archE908ELNS1_3gpuE7ELNS1_3repE0EEENS1_30default_config_static_selectorELNS0_4arch9wavefront6targetE0EEEvT1_,"axG",@progbits,_ZN7rocprim17ROCPRIM_400000_NS6detail17trampoline_kernelINS0_14default_configENS1_27scan_by_key_config_selectorImiEEZZNS1_16scan_by_key_implILNS1_25lookback_scan_determinismE0ELb0ES3_N6thrust23THRUST_200600_302600_NS18transform_iteratorI9row_indexNS9_17counting_iteratorImNS9_11use_defaultESD_SD_EESD_SD_EENS9_6detail15normal_iteratorINS9_10device_ptrIiEEEESK_iNS9_4plusIvEENS9_8equal_toIvEEiEE10hipError_tPvRmT2_T3_T4_T5_mT6_T7_P12ihipStream_tbENKUlT_T0_E_clISt17integral_constantIbLb0EES15_EEDaS10_S11_EUlS10_E_NS1_11comp_targetILNS1_3genE3ELNS1_11target_archE908ELNS1_3gpuE7ELNS1_3repE0EEENS1_30default_config_static_selectorELNS0_4arch9wavefront6targetE0EEEvT1_,comdat
.Lfunc_end7:
	.size	_ZN7rocprim17ROCPRIM_400000_NS6detail17trampoline_kernelINS0_14default_configENS1_27scan_by_key_config_selectorImiEEZZNS1_16scan_by_key_implILNS1_25lookback_scan_determinismE0ELb0ES3_N6thrust23THRUST_200600_302600_NS18transform_iteratorI9row_indexNS9_17counting_iteratorImNS9_11use_defaultESD_SD_EESD_SD_EENS9_6detail15normal_iteratorINS9_10device_ptrIiEEEESK_iNS9_4plusIvEENS9_8equal_toIvEEiEE10hipError_tPvRmT2_T3_T4_T5_mT6_T7_P12ihipStream_tbENKUlT_T0_E_clISt17integral_constantIbLb0EES15_EEDaS10_S11_EUlS10_E_NS1_11comp_targetILNS1_3genE3ELNS1_11target_archE908ELNS1_3gpuE7ELNS1_3repE0EEENS1_30default_config_static_selectorELNS0_4arch9wavefront6targetE0EEEvT1_, .Lfunc_end7-_ZN7rocprim17ROCPRIM_400000_NS6detail17trampoline_kernelINS0_14default_configENS1_27scan_by_key_config_selectorImiEEZZNS1_16scan_by_key_implILNS1_25lookback_scan_determinismE0ELb0ES3_N6thrust23THRUST_200600_302600_NS18transform_iteratorI9row_indexNS9_17counting_iteratorImNS9_11use_defaultESD_SD_EESD_SD_EENS9_6detail15normal_iteratorINS9_10device_ptrIiEEEESK_iNS9_4plusIvEENS9_8equal_toIvEEiEE10hipError_tPvRmT2_T3_T4_T5_mT6_T7_P12ihipStream_tbENKUlT_T0_E_clISt17integral_constantIbLb0EES15_EEDaS10_S11_EUlS10_E_NS1_11comp_targetILNS1_3genE3ELNS1_11target_archE908ELNS1_3gpuE7ELNS1_3repE0EEENS1_30default_config_static_selectorELNS0_4arch9wavefront6targetE0EEEvT1_
                                        ; -- End function
	.set _ZN7rocprim17ROCPRIM_400000_NS6detail17trampoline_kernelINS0_14default_configENS1_27scan_by_key_config_selectorImiEEZZNS1_16scan_by_key_implILNS1_25lookback_scan_determinismE0ELb0ES3_N6thrust23THRUST_200600_302600_NS18transform_iteratorI9row_indexNS9_17counting_iteratorImNS9_11use_defaultESD_SD_EESD_SD_EENS9_6detail15normal_iteratorINS9_10device_ptrIiEEEESK_iNS9_4plusIvEENS9_8equal_toIvEEiEE10hipError_tPvRmT2_T3_T4_T5_mT6_T7_P12ihipStream_tbENKUlT_T0_E_clISt17integral_constantIbLb0EES15_EEDaS10_S11_EUlS10_E_NS1_11comp_targetILNS1_3genE3ELNS1_11target_archE908ELNS1_3gpuE7ELNS1_3repE0EEENS1_30default_config_static_selectorELNS0_4arch9wavefront6targetE0EEEvT1_.num_vgpr, 0
	.set _ZN7rocprim17ROCPRIM_400000_NS6detail17trampoline_kernelINS0_14default_configENS1_27scan_by_key_config_selectorImiEEZZNS1_16scan_by_key_implILNS1_25lookback_scan_determinismE0ELb0ES3_N6thrust23THRUST_200600_302600_NS18transform_iteratorI9row_indexNS9_17counting_iteratorImNS9_11use_defaultESD_SD_EESD_SD_EENS9_6detail15normal_iteratorINS9_10device_ptrIiEEEESK_iNS9_4plusIvEENS9_8equal_toIvEEiEE10hipError_tPvRmT2_T3_T4_T5_mT6_T7_P12ihipStream_tbENKUlT_T0_E_clISt17integral_constantIbLb0EES15_EEDaS10_S11_EUlS10_E_NS1_11comp_targetILNS1_3genE3ELNS1_11target_archE908ELNS1_3gpuE7ELNS1_3repE0EEENS1_30default_config_static_selectorELNS0_4arch9wavefront6targetE0EEEvT1_.num_agpr, 0
	.set _ZN7rocprim17ROCPRIM_400000_NS6detail17trampoline_kernelINS0_14default_configENS1_27scan_by_key_config_selectorImiEEZZNS1_16scan_by_key_implILNS1_25lookback_scan_determinismE0ELb0ES3_N6thrust23THRUST_200600_302600_NS18transform_iteratorI9row_indexNS9_17counting_iteratorImNS9_11use_defaultESD_SD_EESD_SD_EENS9_6detail15normal_iteratorINS9_10device_ptrIiEEEESK_iNS9_4plusIvEENS9_8equal_toIvEEiEE10hipError_tPvRmT2_T3_T4_T5_mT6_T7_P12ihipStream_tbENKUlT_T0_E_clISt17integral_constantIbLb0EES15_EEDaS10_S11_EUlS10_E_NS1_11comp_targetILNS1_3genE3ELNS1_11target_archE908ELNS1_3gpuE7ELNS1_3repE0EEENS1_30default_config_static_selectorELNS0_4arch9wavefront6targetE0EEEvT1_.numbered_sgpr, 0
	.set _ZN7rocprim17ROCPRIM_400000_NS6detail17trampoline_kernelINS0_14default_configENS1_27scan_by_key_config_selectorImiEEZZNS1_16scan_by_key_implILNS1_25lookback_scan_determinismE0ELb0ES3_N6thrust23THRUST_200600_302600_NS18transform_iteratorI9row_indexNS9_17counting_iteratorImNS9_11use_defaultESD_SD_EESD_SD_EENS9_6detail15normal_iteratorINS9_10device_ptrIiEEEESK_iNS9_4plusIvEENS9_8equal_toIvEEiEE10hipError_tPvRmT2_T3_T4_T5_mT6_T7_P12ihipStream_tbENKUlT_T0_E_clISt17integral_constantIbLb0EES15_EEDaS10_S11_EUlS10_E_NS1_11comp_targetILNS1_3genE3ELNS1_11target_archE908ELNS1_3gpuE7ELNS1_3repE0EEENS1_30default_config_static_selectorELNS0_4arch9wavefront6targetE0EEEvT1_.num_named_barrier, 0
	.set _ZN7rocprim17ROCPRIM_400000_NS6detail17trampoline_kernelINS0_14default_configENS1_27scan_by_key_config_selectorImiEEZZNS1_16scan_by_key_implILNS1_25lookback_scan_determinismE0ELb0ES3_N6thrust23THRUST_200600_302600_NS18transform_iteratorI9row_indexNS9_17counting_iteratorImNS9_11use_defaultESD_SD_EESD_SD_EENS9_6detail15normal_iteratorINS9_10device_ptrIiEEEESK_iNS9_4plusIvEENS9_8equal_toIvEEiEE10hipError_tPvRmT2_T3_T4_T5_mT6_T7_P12ihipStream_tbENKUlT_T0_E_clISt17integral_constantIbLb0EES15_EEDaS10_S11_EUlS10_E_NS1_11comp_targetILNS1_3genE3ELNS1_11target_archE908ELNS1_3gpuE7ELNS1_3repE0EEENS1_30default_config_static_selectorELNS0_4arch9wavefront6targetE0EEEvT1_.private_seg_size, 0
	.set _ZN7rocprim17ROCPRIM_400000_NS6detail17trampoline_kernelINS0_14default_configENS1_27scan_by_key_config_selectorImiEEZZNS1_16scan_by_key_implILNS1_25lookback_scan_determinismE0ELb0ES3_N6thrust23THRUST_200600_302600_NS18transform_iteratorI9row_indexNS9_17counting_iteratorImNS9_11use_defaultESD_SD_EESD_SD_EENS9_6detail15normal_iteratorINS9_10device_ptrIiEEEESK_iNS9_4plusIvEENS9_8equal_toIvEEiEE10hipError_tPvRmT2_T3_T4_T5_mT6_T7_P12ihipStream_tbENKUlT_T0_E_clISt17integral_constantIbLb0EES15_EEDaS10_S11_EUlS10_E_NS1_11comp_targetILNS1_3genE3ELNS1_11target_archE908ELNS1_3gpuE7ELNS1_3repE0EEENS1_30default_config_static_selectorELNS0_4arch9wavefront6targetE0EEEvT1_.uses_vcc, 0
	.set _ZN7rocprim17ROCPRIM_400000_NS6detail17trampoline_kernelINS0_14default_configENS1_27scan_by_key_config_selectorImiEEZZNS1_16scan_by_key_implILNS1_25lookback_scan_determinismE0ELb0ES3_N6thrust23THRUST_200600_302600_NS18transform_iteratorI9row_indexNS9_17counting_iteratorImNS9_11use_defaultESD_SD_EESD_SD_EENS9_6detail15normal_iteratorINS9_10device_ptrIiEEEESK_iNS9_4plusIvEENS9_8equal_toIvEEiEE10hipError_tPvRmT2_T3_T4_T5_mT6_T7_P12ihipStream_tbENKUlT_T0_E_clISt17integral_constantIbLb0EES15_EEDaS10_S11_EUlS10_E_NS1_11comp_targetILNS1_3genE3ELNS1_11target_archE908ELNS1_3gpuE7ELNS1_3repE0EEENS1_30default_config_static_selectorELNS0_4arch9wavefront6targetE0EEEvT1_.uses_flat_scratch, 0
	.set _ZN7rocprim17ROCPRIM_400000_NS6detail17trampoline_kernelINS0_14default_configENS1_27scan_by_key_config_selectorImiEEZZNS1_16scan_by_key_implILNS1_25lookback_scan_determinismE0ELb0ES3_N6thrust23THRUST_200600_302600_NS18transform_iteratorI9row_indexNS9_17counting_iteratorImNS9_11use_defaultESD_SD_EESD_SD_EENS9_6detail15normal_iteratorINS9_10device_ptrIiEEEESK_iNS9_4plusIvEENS9_8equal_toIvEEiEE10hipError_tPvRmT2_T3_T4_T5_mT6_T7_P12ihipStream_tbENKUlT_T0_E_clISt17integral_constantIbLb0EES15_EEDaS10_S11_EUlS10_E_NS1_11comp_targetILNS1_3genE3ELNS1_11target_archE908ELNS1_3gpuE7ELNS1_3repE0EEENS1_30default_config_static_selectorELNS0_4arch9wavefront6targetE0EEEvT1_.has_dyn_sized_stack, 0
	.set _ZN7rocprim17ROCPRIM_400000_NS6detail17trampoline_kernelINS0_14default_configENS1_27scan_by_key_config_selectorImiEEZZNS1_16scan_by_key_implILNS1_25lookback_scan_determinismE0ELb0ES3_N6thrust23THRUST_200600_302600_NS18transform_iteratorI9row_indexNS9_17counting_iteratorImNS9_11use_defaultESD_SD_EESD_SD_EENS9_6detail15normal_iteratorINS9_10device_ptrIiEEEESK_iNS9_4plusIvEENS9_8equal_toIvEEiEE10hipError_tPvRmT2_T3_T4_T5_mT6_T7_P12ihipStream_tbENKUlT_T0_E_clISt17integral_constantIbLb0EES15_EEDaS10_S11_EUlS10_E_NS1_11comp_targetILNS1_3genE3ELNS1_11target_archE908ELNS1_3gpuE7ELNS1_3repE0EEENS1_30default_config_static_selectorELNS0_4arch9wavefront6targetE0EEEvT1_.has_recursion, 0
	.set _ZN7rocprim17ROCPRIM_400000_NS6detail17trampoline_kernelINS0_14default_configENS1_27scan_by_key_config_selectorImiEEZZNS1_16scan_by_key_implILNS1_25lookback_scan_determinismE0ELb0ES3_N6thrust23THRUST_200600_302600_NS18transform_iteratorI9row_indexNS9_17counting_iteratorImNS9_11use_defaultESD_SD_EESD_SD_EENS9_6detail15normal_iteratorINS9_10device_ptrIiEEEESK_iNS9_4plusIvEENS9_8equal_toIvEEiEE10hipError_tPvRmT2_T3_T4_T5_mT6_T7_P12ihipStream_tbENKUlT_T0_E_clISt17integral_constantIbLb0EES15_EEDaS10_S11_EUlS10_E_NS1_11comp_targetILNS1_3genE3ELNS1_11target_archE908ELNS1_3gpuE7ELNS1_3repE0EEENS1_30default_config_static_selectorELNS0_4arch9wavefront6targetE0EEEvT1_.has_indirect_call, 0
	.section	.AMDGPU.csdata,"",@progbits
; Kernel info:
; codeLenInByte = 0
; TotalNumSgprs: 0
; NumVgprs: 0
; ScratchSize: 0
; MemoryBound: 0
; FloatMode: 240
; IeeeMode: 1
; LDSByteSize: 0 bytes/workgroup (compile time only)
; SGPRBlocks: 0
; VGPRBlocks: 0
; NumSGPRsForWavesPerEU: 1
; NumVGPRsForWavesPerEU: 1
; Occupancy: 16
; WaveLimiterHint : 0
; COMPUTE_PGM_RSRC2:SCRATCH_EN: 0
; COMPUTE_PGM_RSRC2:USER_SGPR: 6
; COMPUTE_PGM_RSRC2:TRAP_HANDLER: 0
; COMPUTE_PGM_RSRC2:TGID_X_EN: 1
; COMPUTE_PGM_RSRC2:TGID_Y_EN: 0
; COMPUTE_PGM_RSRC2:TGID_Z_EN: 0
; COMPUTE_PGM_RSRC2:TIDIG_COMP_CNT: 0
	.section	.text._ZN7rocprim17ROCPRIM_400000_NS6detail17trampoline_kernelINS0_14default_configENS1_27scan_by_key_config_selectorImiEEZZNS1_16scan_by_key_implILNS1_25lookback_scan_determinismE0ELb0ES3_N6thrust23THRUST_200600_302600_NS18transform_iteratorI9row_indexNS9_17counting_iteratorImNS9_11use_defaultESD_SD_EESD_SD_EENS9_6detail15normal_iteratorINS9_10device_ptrIiEEEESK_iNS9_4plusIvEENS9_8equal_toIvEEiEE10hipError_tPvRmT2_T3_T4_T5_mT6_T7_P12ihipStream_tbENKUlT_T0_E_clISt17integral_constantIbLb0EES15_EEDaS10_S11_EUlS10_E_NS1_11comp_targetILNS1_3genE2ELNS1_11target_archE906ELNS1_3gpuE6ELNS1_3repE0EEENS1_30default_config_static_selectorELNS0_4arch9wavefront6targetE0EEEvT1_,"axG",@progbits,_ZN7rocprim17ROCPRIM_400000_NS6detail17trampoline_kernelINS0_14default_configENS1_27scan_by_key_config_selectorImiEEZZNS1_16scan_by_key_implILNS1_25lookback_scan_determinismE0ELb0ES3_N6thrust23THRUST_200600_302600_NS18transform_iteratorI9row_indexNS9_17counting_iteratorImNS9_11use_defaultESD_SD_EESD_SD_EENS9_6detail15normal_iteratorINS9_10device_ptrIiEEEESK_iNS9_4plusIvEENS9_8equal_toIvEEiEE10hipError_tPvRmT2_T3_T4_T5_mT6_T7_P12ihipStream_tbENKUlT_T0_E_clISt17integral_constantIbLb0EES15_EEDaS10_S11_EUlS10_E_NS1_11comp_targetILNS1_3genE2ELNS1_11target_archE906ELNS1_3gpuE6ELNS1_3repE0EEENS1_30default_config_static_selectorELNS0_4arch9wavefront6targetE0EEEvT1_,comdat
	.protected	_ZN7rocprim17ROCPRIM_400000_NS6detail17trampoline_kernelINS0_14default_configENS1_27scan_by_key_config_selectorImiEEZZNS1_16scan_by_key_implILNS1_25lookback_scan_determinismE0ELb0ES3_N6thrust23THRUST_200600_302600_NS18transform_iteratorI9row_indexNS9_17counting_iteratorImNS9_11use_defaultESD_SD_EESD_SD_EENS9_6detail15normal_iteratorINS9_10device_ptrIiEEEESK_iNS9_4plusIvEENS9_8equal_toIvEEiEE10hipError_tPvRmT2_T3_T4_T5_mT6_T7_P12ihipStream_tbENKUlT_T0_E_clISt17integral_constantIbLb0EES15_EEDaS10_S11_EUlS10_E_NS1_11comp_targetILNS1_3genE2ELNS1_11target_archE906ELNS1_3gpuE6ELNS1_3repE0EEENS1_30default_config_static_selectorELNS0_4arch9wavefront6targetE0EEEvT1_ ; -- Begin function _ZN7rocprim17ROCPRIM_400000_NS6detail17trampoline_kernelINS0_14default_configENS1_27scan_by_key_config_selectorImiEEZZNS1_16scan_by_key_implILNS1_25lookback_scan_determinismE0ELb0ES3_N6thrust23THRUST_200600_302600_NS18transform_iteratorI9row_indexNS9_17counting_iteratorImNS9_11use_defaultESD_SD_EESD_SD_EENS9_6detail15normal_iteratorINS9_10device_ptrIiEEEESK_iNS9_4plusIvEENS9_8equal_toIvEEiEE10hipError_tPvRmT2_T3_T4_T5_mT6_T7_P12ihipStream_tbENKUlT_T0_E_clISt17integral_constantIbLb0EES15_EEDaS10_S11_EUlS10_E_NS1_11comp_targetILNS1_3genE2ELNS1_11target_archE906ELNS1_3gpuE6ELNS1_3repE0EEENS1_30default_config_static_selectorELNS0_4arch9wavefront6targetE0EEEvT1_
	.globl	_ZN7rocprim17ROCPRIM_400000_NS6detail17trampoline_kernelINS0_14default_configENS1_27scan_by_key_config_selectorImiEEZZNS1_16scan_by_key_implILNS1_25lookback_scan_determinismE0ELb0ES3_N6thrust23THRUST_200600_302600_NS18transform_iteratorI9row_indexNS9_17counting_iteratorImNS9_11use_defaultESD_SD_EESD_SD_EENS9_6detail15normal_iteratorINS9_10device_ptrIiEEEESK_iNS9_4plusIvEENS9_8equal_toIvEEiEE10hipError_tPvRmT2_T3_T4_T5_mT6_T7_P12ihipStream_tbENKUlT_T0_E_clISt17integral_constantIbLb0EES15_EEDaS10_S11_EUlS10_E_NS1_11comp_targetILNS1_3genE2ELNS1_11target_archE906ELNS1_3gpuE6ELNS1_3repE0EEENS1_30default_config_static_selectorELNS0_4arch9wavefront6targetE0EEEvT1_
	.p2align	8
	.type	_ZN7rocprim17ROCPRIM_400000_NS6detail17trampoline_kernelINS0_14default_configENS1_27scan_by_key_config_selectorImiEEZZNS1_16scan_by_key_implILNS1_25lookback_scan_determinismE0ELb0ES3_N6thrust23THRUST_200600_302600_NS18transform_iteratorI9row_indexNS9_17counting_iteratorImNS9_11use_defaultESD_SD_EESD_SD_EENS9_6detail15normal_iteratorINS9_10device_ptrIiEEEESK_iNS9_4plusIvEENS9_8equal_toIvEEiEE10hipError_tPvRmT2_T3_T4_T5_mT6_T7_P12ihipStream_tbENKUlT_T0_E_clISt17integral_constantIbLb0EES15_EEDaS10_S11_EUlS10_E_NS1_11comp_targetILNS1_3genE2ELNS1_11target_archE906ELNS1_3gpuE6ELNS1_3repE0EEENS1_30default_config_static_selectorELNS0_4arch9wavefront6targetE0EEEvT1_,@function
_ZN7rocprim17ROCPRIM_400000_NS6detail17trampoline_kernelINS0_14default_configENS1_27scan_by_key_config_selectorImiEEZZNS1_16scan_by_key_implILNS1_25lookback_scan_determinismE0ELb0ES3_N6thrust23THRUST_200600_302600_NS18transform_iteratorI9row_indexNS9_17counting_iteratorImNS9_11use_defaultESD_SD_EESD_SD_EENS9_6detail15normal_iteratorINS9_10device_ptrIiEEEESK_iNS9_4plusIvEENS9_8equal_toIvEEiEE10hipError_tPvRmT2_T3_T4_T5_mT6_T7_P12ihipStream_tbENKUlT_T0_E_clISt17integral_constantIbLb0EES15_EEDaS10_S11_EUlS10_E_NS1_11comp_targetILNS1_3genE2ELNS1_11target_archE906ELNS1_3gpuE6ELNS1_3repE0EEENS1_30default_config_static_selectorELNS0_4arch9wavefront6targetE0EEEvT1_: ; @_ZN7rocprim17ROCPRIM_400000_NS6detail17trampoline_kernelINS0_14default_configENS1_27scan_by_key_config_selectorImiEEZZNS1_16scan_by_key_implILNS1_25lookback_scan_determinismE0ELb0ES3_N6thrust23THRUST_200600_302600_NS18transform_iteratorI9row_indexNS9_17counting_iteratorImNS9_11use_defaultESD_SD_EESD_SD_EENS9_6detail15normal_iteratorINS9_10device_ptrIiEEEESK_iNS9_4plusIvEENS9_8equal_toIvEEiEE10hipError_tPvRmT2_T3_T4_T5_mT6_T7_P12ihipStream_tbENKUlT_T0_E_clISt17integral_constantIbLb0EES15_EEDaS10_S11_EUlS10_E_NS1_11comp_targetILNS1_3genE2ELNS1_11target_archE906ELNS1_3gpuE6ELNS1_3repE0EEENS1_30default_config_static_selectorELNS0_4arch9wavefront6targetE0EEEvT1_
; %bb.0:
	.section	.rodata,"a",@progbits
	.p2align	6, 0x0
	.amdhsa_kernel _ZN7rocprim17ROCPRIM_400000_NS6detail17trampoline_kernelINS0_14default_configENS1_27scan_by_key_config_selectorImiEEZZNS1_16scan_by_key_implILNS1_25lookback_scan_determinismE0ELb0ES3_N6thrust23THRUST_200600_302600_NS18transform_iteratorI9row_indexNS9_17counting_iteratorImNS9_11use_defaultESD_SD_EESD_SD_EENS9_6detail15normal_iteratorINS9_10device_ptrIiEEEESK_iNS9_4plusIvEENS9_8equal_toIvEEiEE10hipError_tPvRmT2_T3_T4_T5_mT6_T7_P12ihipStream_tbENKUlT_T0_E_clISt17integral_constantIbLb0EES15_EEDaS10_S11_EUlS10_E_NS1_11comp_targetILNS1_3genE2ELNS1_11target_archE906ELNS1_3gpuE6ELNS1_3repE0EEENS1_30default_config_static_selectorELNS0_4arch9wavefront6targetE0EEEvT1_
		.amdhsa_group_segment_fixed_size 0
		.amdhsa_private_segment_fixed_size 0
		.amdhsa_kernarg_size 120
		.amdhsa_user_sgpr_count 6
		.amdhsa_user_sgpr_private_segment_buffer 1
		.amdhsa_user_sgpr_dispatch_ptr 0
		.amdhsa_user_sgpr_queue_ptr 0
		.amdhsa_user_sgpr_kernarg_segment_ptr 1
		.amdhsa_user_sgpr_dispatch_id 0
		.amdhsa_user_sgpr_flat_scratch_init 0
		.amdhsa_user_sgpr_private_segment_size 0
		.amdhsa_wavefront_size32 1
		.amdhsa_uses_dynamic_stack 0
		.amdhsa_system_sgpr_private_segment_wavefront_offset 0
		.amdhsa_system_sgpr_workgroup_id_x 1
		.amdhsa_system_sgpr_workgroup_id_y 0
		.amdhsa_system_sgpr_workgroup_id_z 0
		.amdhsa_system_sgpr_workgroup_info 0
		.amdhsa_system_vgpr_workitem_id 0
		.amdhsa_next_free_vgpr 1
		.amdhsa_next_free_sgpr 1
		.amdhsa_reserve_vcc 0
		.amdhsa_reserve_flat_scratch 0
		.amdhsa_float_round_mode_32 0
		.amdhsa_float_round_mode_16_64 0
		.amdhsa_float_denorm_mode_32 3
		.amdhsa_float_denorm_mode_16_64 3
		.amdhsa_dx10_clamp 1
		.amdhsa_ieee_mode 1
		.amdhsa_fp16_overflow 0
		.amdhsa_workgroup_processor_mode 1
		.amdhsa_memory_ordered 1
		.amdhsa_forward_progress 1
		.amdhsa_shared_vgpr_count 0
		.amdhsa_exception_fp_ieee_invalid_op 0
		.amdhsa_exception_fp_denorm_src 0
		.amdhsa_exception_fp_ieee_div_zero 0
		.amdhsa_exception_fp_ieee_overflow 0
		.amdhsa_exception_fp_ieee_underflow 0
		.amdhsa_exception_fp_ieee_inexact 0
		.amdhsa_exception_int_div_zero 0
	.end_amdhsa_kernel
	.section	.text._ZN7rocprim17ROCPRIM_400000_NS6detail17trampoline_kernelINS0_14default_configENS1_27scan_by_key_config_selectorImiEEZZNS1_16scan_by_key_implILNS1_25lookback_scan_determinismE0ELb0ES3_N6thrust23THRUST_200600_302600_NS18transform_iteratorI9row_indexNS9_17counting_iteratorImNS9_11use_defaultESD_SD_EESD_SD_EENS9_6detail15normal_iteratorINS9_10device_ptrIiEEEESK_iNS9_4plusIvEENS9_8equal_toIvEEiEE10hipError_tPvRmT2_T3_T4_T5_mT6_T7_P12ihipStream_tbENKUlT_T0_E_clISt17integral_constantIbLb0EES15_EEDaS10_S11_EUlS10_E_NS1_11comp_targetILNS1_3genE2ELNS1_11target_archE906ELNS1_3gpuE6ELNS1_3repE0EEENS1_30default_config_static_selectorELNS0_4arch9wavefront6targetE0EEEvT1_,"axG",@progbits,_ZN7rocprim17ROCPRIM_400000_NS6detail17trampoline_kernelINS0_14default_configENS1_27scan_by_key_config_selectorImiEEZZNS1_16scan_by_key_implILNS1_25lookback_scan_determinismE0ELb0ES3_N6thrust23THRUST_200600_302600_NS18transform_iteratorI9row_indexNS9_17counting_iteratorImNS9_11use_defaultESD_SD_EESD_SD_EENS9_6detail15normal_iteratorINS9_10device_ptrIiEEEESK_iNS9_4plusIvEENS9_8equal_toIvEEiEE10hipError_tPvRmT2_T3_T4_T5_mT6_T7_P12ihipStream_tbENKUlT_T0_E_clISt17integral_constantIbLb0EES15_EEDaS10_S11_EUlS10_E_NS1_11comp_targetILNS1_3genE2ELNS1_11target_archE906ELNS1_3gpuE6ELNS1_3repE0EEENS1_30default_config_static_selectorELNS0_4arch9wavefront6targetE0EEEvT1_,comdat
.Lfunc_end8:
	.size	_ZN7rocprim17ROCPRIM_400000_NS6detail17trampoline_kernelINS0_14default_configENS1_27scan_by_key_config_selectorImiEEZZNS1_16scan_by_key_implILNS1_25lookback_scan_determinismE0ELb0ES3_N6thrust23THRUST_200600_302600_NS18transform_iteratorI9row_indexNS9_17counting_iteratorImNS9_11use_defaultESD_SD_EESD_SD_EENS9_6detail15normal_iteratorINS9_10device_ptrIiEEEESK_iNS9_4plusIvEENS9_8equal_toIvEEiEE10hipError_tPvRmT2_T3_T4_T5_mT6_T7_P12ihipStream_tbENKUlT_T0_E_clISt17integral_constantIbLb0EES15_EEDaS10_S11_EUlS10_E_NS1_11comp_targetILNS1_3genE2ELNS1_11target_archE906ELNS1_3gpuE6ELNS1_3repE0EEENS1_30default_config_static_selectorELNS0_4arch9wavefront6targetE0EEEvT1_, .Lfunc_end8-_ZN7rocprim17ROCPRIM_400000_NS6detail17trampoline_kernelINS0_14default_configENS1_27scan_by_key_config_selectorImiEEZZNS1_16scan_by_key_implILNS1_25lookback_scan_determinismE0ELb0ES3_N6thrust23THRUST_200600_302600_NS18transform_iteratorI9row_indexNS9_17counting_iteratorImNS9_11use_defaultESD_SD_EESD_SD_EENS9_6detail15normal_iteratorINS9_10device_ptrIiEEEESK_iNS9_4plusIvEENS9_8equal_toIvEEiEE10hipError_tPvRmT2_T3_T4_T5_mT6_T7_P12ihipStream_tbENKUlT_T0_E_clISt17integral_constantIbLb0EES15_EEDaS10_S11_EUlS10_E_NS1_11comp_targetILNS1_3genE2ELNS1_11target_archE906ELNS1_3gpuE6ELNS1_3repE0EEENS1_30default_config_static_selectorELNS0_4arch9wavefront6targetE0EEEvT1_
                                        ; -- End function
	.set _ZN7rocprim17ROCPRIM_400000_NS6detail17trampoline_kernelINS0_14default_configENS1_27scan_by_key_config_selectorImiEEZZNS1_16scan_by_key_implILNS1_25lookback_scan_determinismE0ELb0ES3_N6thrust23THRUST_200600_302600_NS18transform_iteratorI9row_indexNS9_17counting_iteratorImNS9_11use_defaultESD_SD_EESD_SD_EENS9_6detail15normal_iteratorINS9_10device_ptrIiEEEESK_iNS9_4plusIvEENS9_8equal_toIvEEiEE10hipError_tPvRmT2_T3_T4_T5_mT6_T7_P12ihipStream_tbENKUlT_T0_E_clISt17integral_constantIbLb0EES15_EEDaS10_S11_EUlS10_E_NS1_11comp_targetILNS1_3genE2ELNS1_11target_archE906ELNS1_3gpuE6ELNS1_3repE0EEENS1_30default_config_static_selectorELNS0_4arch9wavefront6targetE0EEEvT1_.num_vgpr, 0
	.set _ZN7rocprim17ROCPRIM_400000_NS6detail17trampoline_kernelINS0_14default_configENS1_27scan_by_key_config_selectorImiEEZZNS1_16scan_by_key_implILNS1_25lookback_scan_determinismE0ELb0ES3_N6thrust23THRUST_200600_302600_NS18transform_iteratorI9row_indexNS9_17counting_iteratorImNS9_11use_defaultESD_SD_EESD_SD_EENS9_6detail15normal_iteratorINS9_10device_ptrIiEEEESK_iNS9_4plusIvEENS9_8equal_toIvEEiEE10hipError_tPvRmT2_T3_T4_T5_mT6_T7_P12ihipStream_tbENKUlT_T0_E_clISt17integral_constantIbLb0EES15_EEDaS10_S11_EUlS10_E_NS1_11comp_targetILNS1_3genE2ELNS1_11target_archE906ELNS1_3gpuE6ELNS1_3repE0EEENS1_30default_config_static_selectorELNS0_4arch9wavefront6targetE0EEEvT1_.num_agpr, 0
	.set _ZN7rocprim17ROCPRIM_400000_NS6detail17trampoline_kernelINS0_14default_configENS1_27scan_by_key_config_selectorImiEEZZNS1_16scan_by_key_implILNS1_25lookback_scan_determinismE0ELb0ES3_N6thrust23THRUST_200600_302600_NS18transform_iteratorI9row_indexNS9_17counting_iteratorImNS9_11use_defaultESD_SD_EESD_SD_EENS9_6detail15normal_iteratorINS9_10device_ptrIiEEEESK_iNS9_4plusIvEENS9_8equal_toIvEEiEE10hipError_tPvRmT2_T3_T4_T5_mT6_T7_P12ihipStream_tbENKUlT_T0_E_clISt17integral_constantIbLb0EES15_EEDaS10_S11_EUlS10_E_NS1_11comp_targetILNS1_3genE2ELNS1_11target_archE906ELNS1_3gpuE6ELNS1_3repE0EEENS1_30default_config_static_selectorELNS0_4arch9wavefront6targetE0EEEvT1_.numbered_sgpr, 0
	.set _ZN7rocprim17ROCPRIM_400000_NS6detail17trampoline_kernelINS0_14default_configENS1_27scan_by_key_config_selectorImiEEZZNS1_16scan_by_key_implILNS1_25lookback_scan_determinismE0ELb0ES3_N6thrust23THRUST_200600_302600_NS18transform_iteratorI9row_indexNS9_17counting_iteratorImNS9_11use_defaultESD_SD_EESD_SD_EENS9_6detail15normal_iteratorINS9_10device_ptrIiEEEESK_iNS9_4plusIvEENS9_8equal_toIvEEiEE10hipError_tPvRmT2_T3_T4_T5_mT6_T7_P12ihipStream_tbENKUlT_T0_E_clISt17integral_constantIbLb0EES15_EEDaS10_S11_EUlS10_E_NS1_11comp_targetILNS1_3genE2ELNS1_11target_archE906ELNS1_3gpuE6ELNS1_3repE0EEENS1_30default_config_static_selectorELNS0_4arch9wavefront6targetE0EEEvT1_.num_named_barrier, 0
	.set _ZN7rocprim17ROCPRIM_400000_NS6detail17trampoline_kernelINS0_14default_configENS1_27scan_by_key_config_selectorImiEEZZNS1_16scan_by_key_implILNS1_25lookback_scan_determinismE0ELb0ES3_N6thrust23THRUST_200600_302600_NS18transform_iteratorI9row_indexNS9_17counting_iteratorImNS9_11use_defaultESD_SD_EESD_SD_EENS9_6detail15normal_iteratorINS9_10device_ptrIiEEEESK_iNS9_4plusIvEENS9_8equal_toIvEEiEE10hipError_tPvRmT2_T3_T4_T5_mT6_T7_P12ihipStream_tbENKUlT_T0_E_clISt17integral_constantIbLb0EES15_EEDaS10_S11_EUlS10_E_NS1_11comp_targetILNS1_3genE2ELNS1_11target_archE906ELNS1_3gpuE6ELNS1_3repE0EEENS1_30default_config_static_selectorELNS0_4arch9wavefront6targetE0EEEvT1_.private_seg_size, 0
	.set _ZN7rocprim17ROCPRIM_400000_NS6detail17trampoline_kernelINS0_14default_configENS1_27scan_by_key_config_selectorImiEEZZNS1_16scan_by_key_implILNS1_25lookback_scan_determinismE0ELb0ES3_N6thrust23THRUST_200600_302600_NS18transform_iteratorI9row_indexNS9_17counting_iteratorImNS9_11use_defaultESD_SD_EESD_SD_EENS9_6detail15normal_iteratorINS9_10device_ptrIiEEEESK_iNS9_4plusIvEENS9_8equal_toIvEEiEE10hipError_tPvRmT2_T3_T4_T5_mT6_T7_P12ihipStream_tbENKUlT_T0_E_clISt17integral_constantIbLb0EES15_EEDaS10_S11_EUlS10_E_NS1_11comp_targetILNS1_3genE2ELNS1_11target_archE906ELNS1_3gpuE6ELNS1_3repE0EEENS1_30default_config_static_selectorELNS0_4arch9wavefront6targetE0EEEvT1_.uses_vcc, 0
	.set _ZN7rocprim17ROCPRIM_400000_NS6detail17trampoline_kernelINS0_14default_configENS1_27scan_by_key_config_selectorImiEEZZNS1_16scan_by_key_implILNS1_25lookback_scan_determinismE0ELb0ES3_N6thrust23THRUST_200600_302600_NS18transform_iteratorI9row_indexNS9_17counting_iteratorImNS9_11use_defaultESD_SD_EESD_SD_EENS9_6detail15normal_iteratorINS9_10device_ptrIiEEEESK_iNS9_4plusIvEENS9_8equal_toIvEEiEE10hipError_tPvRmT2_T3_T4_T5_mT6_T7_P12ihipStream_tbENKUlT_T0_E_clISt17integral_constantIbLb0EES15_EEDaS10_S11_EUlS10_E_NS1_11comp_targetILNS1_3genE2ELNS1_11target_archE906ELNS1_3gpuE6ELNS1_3repE0EEENS1_30default_config_static_selectorELNS0_4arch9wavefront6targetE0EEEvT1_.uses_flat_scratch, 0
	.set _ZN7rocprim17ROCPRIM_400000_NS6detail17trampoline_kernelINS0_14default_configENS1_27scan_by_key_config_selectorImiEEZZNS1_16scan_by_key_implILNS1_25lookback_scan_determinismE0ELb0ES3_N6thrust23THRUST_200600_302600_NS18transform_iteratorI9row_indexNS9_17counting_iteratorImNS9_11use_defaultESD_SD_EESD_SD_EENS9_6detail15normal_iteratorINS9_10device_ptrIiEEEESK_iNS9_4plusIvEENS9_8equal_toIvEEiEE10hipError_tPvRmT2_T3_T4_T5_mT6_T7_P12ihipStream_tbENKUlT_T0_E_clISt17integral_constantIbLb0EES15_EEDaS10_S11_EUlS10_E_NS1_11comp_targetILNS1_3genE2ELNS1_11target_archE906ELNS1_3gpuE6ELNS1_3repE0EEENS1_30default_config_static_selectorELNS0_4arch9wavefront6targetE0EEEvT1_.has_dyn_sized_stack, 0
	.set _ZN7rocprim17ROCPRIM_400000_NS6detail17trampoline_kernelINS0_14default_configENS1_27scan_by_key_config_selectorImiEEZZNS1_16scan_by_key_implILNS1_25lookback_scan_determinismE0ELb0ES3_N6thrust23THRUST_200600_302600_NS18transform_iteratorI9row_indexNS9_17counting_iteratorImNS9_11use_defaultESD_SD_EESD_SD_EENS9_6detail15normal_iteratorINS9_10device_ptrIiEEEESK_iNS9_4plusIvEENS9_8equal_toIvEEiEE10hipError_tPvRmT2_T3_T4_T5_mT6_T7_P12ihipStream_tbENKUlT_T0_E_clISt17integral_constantIbLb0EES15_EEDaS10_S11_EUlS10_E_NS1_11comp_targetILNS1_3genE2ELNS1_11target_archE906ELNS1_3gpuE6ELNS1_3repE0EEENS1_30default_config_static_selectorELNS0_4arch9wavefront6targetE0EEEvT1_.has_recursion, 0
	.set _ZN7rocprim17ROCPRIM_400000_NS6detail17trampoline_kernelINS0_14default_configENS1_27scan_by_key_config_selectorImiEEZZNS1_16scan_by_key_implILNS1_25lookback_scan_determinismE0ELb0ES3_N6thrust23THRUST_200600_302600_NS18transform_iteratorI9row_indexNS9_17counting_iteratorImNS9_11use_defaultESD_SD_EESD_SD_EENS9_6detail15normal_iteratorINS9_10device_ptrIiEEEESK_iNS9_4plusIvEENS9_8equal_toIvEEiEE10hipError_tPvRmT2_T3_T4_T5_mT6_T7_P12ihipStream_tbENKUlT_T0_E_clISt17integral_constantIbLb0EES15_EEDaS10_S11_EUlS10_E_NS1_11comp_targetILNS1_3genE2ELNS1_11target_archE906ELNS1_3gpuE6ELNS1_3repE0EEENS1_30default_config_static_selectorELNS0_4arch9wavefront6targetE0EEEvT1_.has_indirect_call, 0
	.section	.AMDGPU.csdata,"",@progbits
; Kernel info:
; codeLenInByte = 0
; TotalNumSgprs: 0
; NumVgprs: 0
; ScratchSize: 0
; MemoryBound: 0
; FloatMode: 240
; IeeeMode: 1
; LDSByteSize: 0 bytes/workgroup (compile time only)
; SGPRBlocks: 0
; VGPRBlocks: 0
; NumSGPRsForWavesPerEU: 1
; NumVGPRsForWavesPerEU: 1
; Occupancy: 16
; WaveLimiterHint : 0
; COMPUTE_PGM_RSRC2:SCRATCH_EN: 0
; COMPUTE_PGM_RSRC2:USER_SGPR: 6
; COMPUTE_PGM_RSRC2:TRAP_HANDLER: 0
; COMPUTE_PGM_RSRC2:TGID_X_EN: 1
; COMPUTE_PGM_RSRC2:TGID_Y_EN: 0
; COMPUTE_PGM_RSRC2:TGID_Z_EN: 0
; COMPUTE_PGM_RSRC2:TIDIG_COMP_CNT: 0
	.section	.text._ZN7rocprim17ROCPRIM_400000_NS6detail17trampoline_kernelINS0_14default_configENS1_27scan_by_key_config_selectorImiEEZZNS1_16scan_by_key_implILNS1_25lookback_scan_determinismE0ELb0ES3_N6thrust23THRUST_200600_302600_NS18transform_iteratorI9row_indexNS9_17counting_iteratorImNS9_11use_defaultESD_SD_EESD_SD_EENS9_6detail15normal_iteratorINS9_10device_ptrIiEEEESK_iNS9_4plusIvEENS9_8equal_toIvEEiEE10hipError_tPvRmT2_T3_T4_T5_mT6_T7_P12ihipStream_tbENKUlT_T0_E_clISt17integral_constantIbLb0EES15_EEDaS10_S11_EUlS10_E_NS1_11comp_targetILNS1_3genE10ELNS1_11target_archE1200ELNS1_3gpuE4ELNS1_3repE0EEENS1_30default_config_static_selectorELNS0_4arch9wavefront6targetE0EEEvT1_,"axG",@progbits,_ZN7rocprim17ROCPRIM_400000_NS6detail17trampoline_kernelINS0_14default_configENS1_27scan_by_key_config_selectorImiEEZZNS1_16scan_by_key_implILNS1_25lookback_scan_determinismE0ELb0ES3_N6thrust23THRUST_200600_302600_NS18transform_iteratorI9row_indexNS9_17counting_iteratorImNS9_11use_defaultESD_SD_EESD_SD_EENS9_6detail15normal_iteratorINS9_10device_ptrIiEEEESK_iNS9_4plusIvEENS9_8equal_toIvEEiEE10hipError_tPvRmT2_T3_T4_T5_mT6_T7_P12ihipStream_tbENKUlT_T0_E_clISt17integral_constantIbLb0EES15_EEDaS10_S11_EUlS10_E_NS1_11comp_targetILNS1_3genE10ELNS1_11target_archE1200ELNS1_3gpuE4ELNS1_3repE0EEENS1_30default_config_static_selectorELNS0_4arch9wavefront6targetE0EEEvT1_,comdat
	.protected	_ZN7rocprim17ROCPRIM_400000_NS6detail17trampoline_kernelINS0_14default_configENS1_27scan_by_key_config_selectorImiEEZZNS1_16scan_by_key_implILNS1_25lookback_scan_determinismE0ELb0ES3_N6thrust23THRUST_200600_302600_NS18transform_iteratorI9row_indexNS9_17counting_iteratorImNS9_11use_defaultESD_SD_EESD_SD_EENS9_6detail15normal_iteratorINS9_10device_ptrIiEEEESK_iNS9_4plusIvEENS9_8equal_toIvEEiEE10hipError_tPvRmT2_T3_T4_T5_mT6_T7_P12ihipStream_tbENKUlT_T0_E_clISt17integral_constantIbLb0EES15_EEDaS10_S11_EUlS10_E_NS1_11comp_targetILNS1_3genE10ELNS1_11target_archE1200ELNS1_3gpuE4ELNS1_3repE0EEENS1_30default_config_static_selectorELNS0_4arch9wavefront6targetE0EEEvT1_ ; -- Begin function _ZN7rocprim17ROCPRIM_400000_NS6detail17trampoline_kernelINS0_14default_configENS1_27scan_by_key_config_selectorImiEEZZNS1_16scan_by_key_implILNS1_25lookback_scan_determinismE0ELb0ES3_N6thrust23THRUST_200600_302600_NS18transform_iteratorI9row_indexNS9_17counting_iteratorImNS9_11use_defaultESD_SD_EESD_SD_EENS9_6detail15normal_iteratorINS9_10device_ptrIiEEEESK_iNS9_4plusIvEENS9_8equal_toIvEEiEE10hipError_tPvRmT2_T3_T4_T5_mT6_T7_P12ihipStream_tbENKUlT_T0_E_clISt17integral_constantIbLb0EES15_EEDaS10_S11_EUlS10_E_NS1_11comp_targetILNS1_3genE10ELNS1_11target_archE1200ELNS1_3gpuE4ELNS1_3repE0EEENS1_30default_config_static_selectorELNS0_4arch9wavefront6targetE0EEEvT1_
	.globl	_ZN7rocprim17ROCPRIM_400000_NS6detail17trampoline_kernelINS0_14default_configENS1_27scan_by_key_config_selectorImiEEZZNS1_16scan_by_key_implILNS1_25lookback_scan_determinismE0ELb0ES3_N6thrust23THRUST_200600_302600_NS18transform_iteratorI9row_indexNS9_17counting_iteratorImNS9_11use_defaultESD_SD_EESD_SD_EENS9_6detail15normal_iteratorINS9_10device_ptrIiEEEESK_iNS9_4plusIvEENS9_8equal_toIvEEiEE10hipError_tPvRmT2_T3_T4_T5_mT6_T7_P12ihipStream_tbENKUlT_T0_E_clISt17integral_constantIbLb0EES15_EEDaS10_S11_EUlS10_E_NS1_11comp_targetILNS1_3genE10ELNS1_11target_archE1200ELNS1_3gpuE4ELNS1_3repE0EEENS1_30default_config_static_selectorELNS0_4arch9wavefront6targetE0EEEvT1_
	.p2align	8
	.type	_ZN7rocprim17ROCPRIM_400000_NS6detail17trampoline_kernelINS0_14default_configENS1_27scan_by_key_config_selectorImiEEZZNS1_16scan_by_key_implILNS1_25lookback_scan_determinismE0ELb0ES3_N6thrust23THRUST_200600_302600_NS18transform_iteratorI9row_indexNS9_17counting_iteratorImNS9_11use_defaultESD_SD_EESD_SD_EENS9_6detail15normal_iteratorINS9_10device_ptrIiEEEESK_iNS9_4plusIvEENS9_8equal_toIvEEiEE10hipError_tPvRmT2_T3_T4_T5_mT6_T7_P12ihipStream_tbENKUlT_T0_E_clISt17integral_constantIbLb0EES15_EEDaS10_S11_EUlS10_E_NS1_11comp_targetILNS1_3genE10ELNS1_11target_archE1200ELNS1_3gpuE4ELNS1_3repE0EEENS1_30default_config_static_selectorELNS0_4arch9wavefront6targetE0EEEvT1_,@function
_ZN7rocprim17ROCPRIM_400000_NS6detail17trampoline_kernelINS0_14default_configENS1_27scan_by_key_config_selectorImiEEZZNS1_16scan_by_key_implILNS1_25lookback_scan_determinismE0ELb0ES3_N6thrust23THRUST_200600_302600_NS18transform_iteratorI9row_indexNS9_17counting_iteratorImNS9_11use_defaultESD_SD_EESD_SD_EENS9_6detail15normal_iteratorINS9_10device_ptrIiEEEESK_iNS9_4plusIvEENS9_8equal_toIvEEiEE10hipError_tPvRmT2_T3_T4_T5_mT6_T7_P12ihipStream_tbENKUlT_T0_E_clISt17integral_constantIbLb0EES15_EEDaS10_S11_EUlS10_E_NS1_11comp_targetILNS1_3genE10ELNS1_11target_archE1200ELNS1_3gpuE4ELNS1_3repE0EEENS1_30default_config_static_selectorELNS0_4arch9wavefront6targetE0EEEvT1_: ; @_ZN7rocprim17ROCPRIM_400000_NS6detail17trampoline_kernelINS0_14default_configENS1_27scan_by_key_config_selectorImiEEZZNS1_16scan_by_key_implILNS1_25lookback_scan_determinismE0ELb0ES3_N6thrust23THRUST_200600_302600_NS18transform_iteratorI9row_indexNS9_17counting_iteratorImNS9_11use_defaultESD_SD_EESD_SD_EENS9_6detail15normal_iteratorINS9_10device_ptrIiEEEESK_iNS9_4plusIvEENS9_8equal_toIvEEiEE10hipError_tPvRmT2_T3_T4_T5_mT6_T7_P12ihipStream_tbENKUlT_T0_E_clISt17integral_constantIbLb0EES15_EEDaS10_S11_EUlS10_E_NS1_11comp_targetILNS1_3genE10ELNS1_11target_archE1200ELNS1_3gpuE4ELNS1_3repE0EEENS1_30default_config_static_selectorELNS0_4arch9wavefront6targetE0EEEvT1_
; %bb.0:
	.section	.rodata,"a",@progbits
	.p2align	6, 0x0
	.amdhsa_kernel _ZN7rocprim17ROCPRIM_400000_NS6detail17trampoline_kernelINS0_14default_configENS1_27scan_by_key_config_selectorImiEEZZNS1_16scan_by_key_implILNS1_25lookback_scan_determinismE0ELb0ES3_N6thrust23THRUST_200600_302600_NS18transform_iteratorI9row_indexNS9_17counting_iteratorImNS9_11use_defaultESD_SD_EESD_SD_EENS9_6detail15normal_iteratorINS9_10device_ptrIiEEEESK_iNS9_4plusIvEENS9_8equal_toIvEEiEE10hipError_tPvRmT2_T3_T4_T5_mT6_T7_P12ihipStream_tbENKUlT_T0_E_clISt17integral_constantIbLb0EES15_EEDaS10_S11_EUlS10_E_NS1_11comp_targetILNS1_3genE10ELNS1_11target_archE1200ELNS1_3gpuE4ELNS1_3repE0EEENS1_30default_config_static_selectorELNS0_4arch9wavefront6targetE0EEEvT1_
		.amdhsa_group_segment_fixed_size 0
		.amdhsa_private_segment_fixed_size 0
		.amdhsa_kernarg_size 120
		.amdhsa_user_sgpr_count 6
		.amdhsa_user_sgpr_private_segment_buffer 1
		.amdhsa_user_sgpr_dispatch_ptr 0
		.amdhsa_user_sgpr_queue_ptr 0
		.amdhsa_user_sgpr_kernarg_segment_ptr 1
		.amdhsa_user_sgpr_dispatch_id 0
		.amdhsa_user_sgpr_flat_scratch_init 0
		.amdhsa_user_sgpr_private_segment_size 0
		.amdhsa_wavefront_size32 1
		.amdhsa_uses_dynamic_stack 0
		.amdhsa_system_sgpr_private_segment_wavefront_offset 0
		.amdhsa_system_sgpr_workgroup_id_x 1
		.amdhsa_system_sgpr_workgroup_id_y 0
		.amdhsa_system_sgpr_workgroup_id_z 0
		.amdhsa_system_sgpr_workgroup_info 0
		.amdhsa_system_vgpr_workitem_id 0
		.amdhsa_next_free_vgpr 1
		.amdhsa_next_free_sgpr 1
		.amdhsa_reserve_vcc 0
		.amdhsa_reserve_flat_scratch 0
		.amdhsa_float_round_mode_32 0
		.amdhsa_float_round_mode_16_64 0
		.amdhsa_float_denorm_mode_32 3
		.amdhsa_float_denorm_mode_16_64 3
		.amdhsa_dx10_clamp 1
		.amdhsa_ieee_mode 1
		.amdhsa_fp16_overflow 0
		.amdhsa_workgroup_processor_mode 1
		.amdhsa_memory_ordered 1
		.amdhsa_forward_progress 1
		.amdhsa_shared_vgpr_count 0
		.amdhsa_exception_fp_ieee_invalid_op 0
		.amdhsa_exception_fp_denorm_src 0
		.amdhsa_exception_fp_ieee_div_zero 0
		.amdhsa_exception_fp_ieee_overflow 0
		.amdhsa_exception_fp_ieee_underflow 0
		.amdhsa_exception_fp_ieee_inexact 0
		.amdhsa_exception_int_div_zero 0
	.end_amdhsa_kernel
	.section	.text._ZN7rocprim17ROCPRIM_400000_NS6detail17trampoline_kernelINS0_14default_configENS1_27scan_by_key_config_selectorImiEEZZNS1_16scan_by_key_implILNS1_25lookback_scan_determinismE0ELb0ES3_N6thrust23THRUST_200600_302600_NS18transform_iteratorI9row_indexNS9_17counting_iteratorImNS9_11use_defaultESD_SD_EESD_SD_EENS9_6detail15normal_iteratorINS9_10device_ptrIiEEEESK_iNS9_4plusIvEENS9_8equal_toIvEEiEE10hipError_tPvRmT2_T3_T4_T5_mT6_T7_P12ihipStream_tbENKUlT_T0_E_clISt17integral_constantIbLb0EES15_EEDaS10_S11_EUlS10_E_NS1_11comp_targetILNS1_3genE10ELNS1_11target_archE1200ELNS1_3gpuE4ELNS1_3repE0EEENS1_30default_config_static_selectorELNS0_4arch9wavefront6targetE0EEEvT1_,"axG",@progbits,_ZN7rocprim17ROCPRIM_400000_NS6detail17trampoline_kernelINS0_14default_configENS1_27scan_by_key_config_selectorImiEEZZNS1_16scan_by_key_implILNS1_25lookback_scan_determinismE0ELb0ES3_N6thrust23THRUST_200600_302600_NS18transform_iteratorI9row_indexNS9_17counting_iteratorImNS9_11use_defaultESD_SD_EESD_SD_EENS9_6detail15normal_iteratorINS9_10device_ptrIiEEEESK_iNS9_4plusIvEENS9_8equal_toIvEEiEE10hipError_tPvRmT2_T3_T4_T5_mT6_T7_P12ihipStream_tbENKUlT_T0_E_clISt17integral_constantIbLb0EES15_EEDaS10_S11_EUlS10_E_NS1_11comp_targetILNS1_3genE10ELNS1_11target_archE1200ELNS1_3gpuE4ELNS1_3repE0EEENS1_30default_config_static_selectorELNS0_4arch9wavefront6targetE0EEEvT1_,comdat
.Lfunc_end9:
	.size	_ZN7rocprim17ROCPRIM_400000_NS6detail17trampoline_kernelINS0_14default_configENS1_27scan_by_key_config_selectorImiEEZZNS1_16scan_by_key_implILNS1_25lookback_scan_determinismE0ELb0ES3_N6thrust23THRUST_200600_302600_NS18transform_iteratorI9row_indexNS9_17counting_iteratorImNS9_11use_defaultESD_SD_EESD_SD_EENS9_6detail15normal_iteratorINS9_10device_ptrIiEEEESK_iNS9_4plusIvEENS9_8equal_toIvEEiEE10hipError_tPvRmT2_T3_T4_T5_mT6_T7_P12ihipStream_tbENKUlT_T0_E_clISt17integral_constantIbLb0EES15_EEDaS10_S11_EUlS10_E_NS1_11comp_targetILNS1_3genE10ELNS1_11target_archE1200ELNS1_3gpuE4ELNS1_3repE0EEENS1_30default_config_static_selectorELNS0_4arch9wavefront6targetE0EEEvT1_, .Lfunc_end9-_ZN7rocprim17ROCPRIM_400000_NS6detail17trampoline_kernelINS0_14default_configENS1_27scan_by_key_config_selectorImiEEZZNS1_16scan_by_key_implILNS1_25lookback_scan_determinismE0ELb0ES3_N6thrust23THRUST_200600_302600_NS18transform_iteratorI9row_indexNS9_17counting_iteratorImNS9_11use_defaultESD_SD_EESD_SD_EENS9_6detail15normal_iteratorINS9_10device_ptrIiEEEESK_iNS9_4plusIvEENS9_8equal_toIvEEiEE10hipError_tPvRmT2_T3_T4_T5_mT6_T7_P12ihipStream_tbENKUlT_T0_E_clISt17integral_constantIbLb0EES15_EEDaS10_S11_EUlS10_E_NS1_11comp_targetILNS1_3genE10ELNS1_11target_archE1200ELNS1_3gpuE4ELNS1_3repE0EEENS1_30default_config_static_selectorELNS0_4arch9wavefront6targetE0EEEvT1_
                                        ; -- End function
	.set _ZN7rocprim17ROCPRIM_400000_NS6detail17trampoline_kernelINS0_14default_configENS1_27scan_by_key_config_selectorImiEEZZNS1_16scan_by_key_implILNS1_25lookback_scan_determinismE0ELb0ES3_N6thrust23THRUST_200600_302600_NS18transform_iteratorI9row_indexNS9_17counting_iteratorImNS9_11use_defaultESD_SD_EESD_SD_EENS9_6detail15normal_iteratorINS9_10device_ptrIiEEEESK_iNS9_4plusIvEENS9_8equal_toIvEEiEE10hipError_tPvRmT2_T3_T4_T5_mT6_T7_P12ihipStream_tbENKUlT_T0_E_clISt17integral_constantIbLb0EES15_EEDaS10_S11_EUlS10_E_NS1_11comp_targetILNS1_3genE10ELNS1_11target_archE1200ELNS1_3gpuE4ELNS1_3repE0EEENS1_30default_config_static_selectorELNS0_4arch9wavefront6targetE0EEEvT1_.num_vgpr, 0
	.set _ZN7rocprim17ROCPRIM_400000_NS6detail17trampoline_kernelINS0_14default_configENS1_27scan_by_key_config_selectorImiEEZZNS1_16scan_by_key_implILNS1_25lookback_scan_determinismE0ELb0ES3_N6thrust23THRUST_200600_302600_NS18transform_iteratorI9row_indexNS9_17counting_iteratorImNS9_11use_defaultESD_SD_EESD_SD_EENS9_6detail15normal_iteratorINS9_10device_ptrIiEEEESK_iNS9_4plusIvEENS9_8equal_toIvEEiEE10hipError_tPvRmT2_T3_T4_T5_mT6_T7_P12ihipStream_tbENKUlT_T0_E_clISt17integral_constantIbLb0EES15_EEDaS10_S11_EUlS10_E_NS1_11comp_targetILNS1_3genE10ELNS1_11target_archE1200ELNS1_3gpuE4ELNS1_3repE0EEENS1_30default_config_static_selectorELNS0_4arch9wavefront6targetE0EEEvT1_.num_agpr, 0
	.set _ZN7rocprim17ROCPRIM_400000_NS6detail17trampoline_kernelINS0_14default_configENS1_27scan_by_key_config_selectorImiEEZZNS1_16scan_by_key_implILNS1_25lookback_scan_determinismE0ELb0ES3_N6thrust23THRUST_200600_302600_NS18transform_iteratorI9row_indexNS9_17counting_iteratorImNS9_11use_defaultESD_SD_EESD_SD_EENS9_6detail15normal_iteratorINS9_10device_ptrIiEEEESK_iNS9_4plusIvEENS9_8equal_toIvEEiEE10hipError_tPvRmT2_T3_T4_T5_mT6_T7_P12ihipStream_tbENKUlT_T0_E_clISt17integral_constantIbLb0EES15_EEDaS10_S11_EUlS10_E_NS1_11comp_targetILNS1_3genE10ELNS1_11target_archE1200ELNS1_3gpuE4ELNS1_3repE0EEENS1_30default_config_static_selectorELNS0_4arch9wavefront6targetE0EEEvT1_.numbered_sgpr, 0
	.set _ZN7rocprim17ROCPRIM_400000_NS6detail17trampoline_kernelINS0_14default_configENS1_27scan_by_key_config_selectorImiEEZZNS1_16scan_by_key_implILNS1_25lookback_scan_determinismE0ELb0ES3_N6thrust23THRUST_200600_302600_NS18transform_iteratorI9row_indexNS9_17counting_iteratorImNS9_11use_defaultESD_SD_EESD_SD_EENS9_6detail15normal_iteratorINS9_10device_ptrIiEEEESK_iNS9_4plusIvEENS9_8equal_toIvEEiEE10hipError_tPvRmT2_T3_T4_T5_mT6_T7_P12ihipStream_tbENKUlT_T0_E_clISt17integral_constantIbLb0EES15_EEDaS10_S11_EUlS10_E_NS1_11comp_targetILNS1_3genE10ELNS1_11target_archE1200ELNS1_3gpuE4ELNS1_3repE0EEENS1_30default_config_static_selectorELNS0_4arch9wavefront6targetE0EEEvT1_.num_named_barrier, 0
	.set _ZN7rocprim17ROCPRIM_400000_NS6detail17trampoline_kernelINS0_14default_configENS1_27scan_by_key_config_selectorImiEEZZNS1_16scan_by_key_implILNS1_25lookback_scan_determinismE0ELb0ES3_N6thrust23THRUST_200600_302600_NS18transform_iteratorI9row_indexNS9_17counting_iteratorImNS9_11use_defaultESD_SD_EESD_SD_EENS9_6detail15normal_iteratorINS9_10device_ptrIiEEEESK_iNS9_4plusIvEENS9_8equal_toIvEEiEE10hipError_tPvRmT2_T3_T4_T5_mT6_T7_P12ihipStream_tbENKUlT_T0_E_clISt17integral_constantIbLb0EES15_EEDaS10_S11_EUlS10_E_NS1_11comp_targetILNS1_3genE10ELNS1_11target_archE1200ELNS1_3gpuE4ELNS1_3repE0EEENS1_30default_config_static_selectorELNS0_4arch9wavefront6targetE0EEEvT1_.private_seg_size, 0
	.set _ZN7rocprim17ROCPRIM_400000_NS6detail17trampoline_kernelINS0_14default_configENS1_27scan_by_key_config_selectorImiEEZZNS1_16scan_by_key_implILNS1_25lookback_scan_determinismE0ELb0ES3_N6thrust23THRUST_200600_302600_NS18transform_iteratorI9row_indexNS9_17counting_iteratorImNS9_11use_defaultESD_SD_EESD_SD_EENS9_6detail15normal_iteratorINS9_10device_ptrIiEEEESK_iNS9_4plusIvEENS9_8equal_toIvEEiEE10hipError_tPvRmT2_T3_T4_T5_mT6_T7_P12ihipStream_tbENKUlT_T0_E_clISt17integral_constantIbLb0EES15_EEDaS10_S11_EUlS10_E_NS1_11comp_targetILNS1_3genE10ELNS1_11target_archE1200ELNS1_3gpuE4ELNS1_3repE0EEENS1_30default_config_static_selectorELNS0_4arch9wavefront6targetE0EEEvT1_.uses_vcc, 0
	.set _ZN7rocprim17ROCPRIM_400000_NS6detail17trampoline_kernelINS0_14default_configENS1_27scan_by_key_config_selectorImiEEZZNS1_16scan_by_key_implILNS1_25lookback_scan_determinismE0ELb0ES3_N6thrust23THRUST_200600_302600_NS18transform_iteratorI9row_indexNS9_17counting_iteratorImNS9_11use_defaultESD_SD_EESD_SD_EENS9_6detail15normal_iteratorINS9_10device_ptrIiEEEESK_iNS9_4plusIvEENS9_8equal_toIvEEiEE10hipError_tPvRmT2_T3_T4_T5_mT6_T7_P12ihipStream_tbENKUlT_T0_E_clISt17integral_constantIbLb0EES15_EEDaS10_S11_EUlS10_E_NS1_11comp_targetILNS1_3genE10ELNS1_11target_archE1200ELNS1_3gpuE4ELNS1_3repE0EEENS1_30default_config_static_selectorELNS0_4arch9wavefront6targetE0EEEvT1_.uses_flat_scratch, 0
	.set _ZN7rocprim17ROCPRIM_400000_NS6detail17trampoline_kernelINS0_14default_configENS1_27scan_by_key_config_selectorImiEEZZNS1_16scan_by_key_implILNS1_25lookback_scan_determinismE0ELb0ES3_N6thrust23THRUST_200600_302600_NS18transform_iteratorI9row_indexNS9_17counting_iteratorImNS9_11use_defaultESD_SD_EESD_SD_EENS9_6detail15normal_iteratorINS9_10device_ptrIiEEEESK_iNS9_4plusIvEENS9_8equal_toIvEEiEE10hipError_tPvRmT2_T3_T4_T5_mT6_T7_P12ihipStream_tbENKUlT_T0_E_clISt17integral_constantIbLb0EES15_EEDaS10_S11_EUlS10_E_NS1_11comp_targetILNS1_3genE10ELNS1_11target_archE1200ELNS1_3gpuE4ELNS1_3repE0EEENS1_30default_config_static_selectorELNS0_4arch9wavefront6targetE0EEEvT1_.has_dyn_sized_stack, 0
	.set _ZN7rocprim17ROCPRIM_400000_NS6detail17trampoline_kernelINS0_14default_configENS1_27scan_by_key_config_selectorImiEEZZNS1_16scan_by_key_implILNS1_25lookback_scan_determinismE0ELb0ES3_N6thrust23THRUST_200600_302600_NS18transform_iteratorI9row_indexNS9_17counting_iteratorImNS9_11use_defaultESD_SD_EESD_SD_EENS9_6detail15normal_iteratorINS9_10device_ptrIiEEEESK_iNS9_4plusIvEENS9_8equal_toIvEEiEE10hipError_tPvRmT2_T3_T4_T5_mT6_T7_P12ihipStream_tbENKUlT_T0_E_clISt17integral_constantIbLb0EES15_EEDaS10_S11_EUlS10_E_NS1_11comp_targetILNS1_3genE10ELNS1_11target_archE1200ELNS1_3gpuE4ELNS1_3repE0EEENS1_30default_config_static_selectorELNS0_4arch9wavefront6targetE0EEEvT1_.has_recursion, 0
	.set _ZN7rocprim17ROCPRIM_400000_NS6detail17trampoline_kernelINS0_14default_configENS1_27scan_by_key_config_selectorImiEEZZNS1_16scan_by_key_implILNS1_25lookback_scan_determinismE0ELb0ES3_N6thrust23THRUST_200600_302600_NS18transform_iteratorI9row_indexNS9_17counting_iteratorImNS9_11use_defaultESD_SD_EESD_SD_EENS9_6detail15normal_iteratorINS9_10device_ptrIiEEEESK_iNS9_4plusIvEENS9_8equal_toIvEEiEE10hipError_tPvRmT2_T3_T4_T5_mT6_T7_P12ihipStream_tbENKUlT_T0_E_clISt17integral_constantIbLb0EES15_EEDaS10_S11_EUlS10_E_NS1_11comp_targetILNS1_3genE10ELNS1_11target_archE1200ELNS1_3gpuE4ELNS1_3repE0EEENS1_30default_config_static_selectorELNS0_4arch9wavefront6targetE0EEEvT1_.has_indirect_call, 0
	.section	.AMDGPU.csdata,"",@progbits
; Kernel info:
; codeLenInByte = 0
; TotalNumSgprs: 0
; NumVgprs: 0
; ScratchSize: 0
; MemoryBound: 0
; FloatMode: 240
; IeeeMode: 1
; LDSByteSize: 0 bytes/workgroup (compile time only)
; SGPRBlocks: 0
; VGPRBlocks: 0
; NumSGPRsForWavesPerEU: 1
; NumVGPRsForWavesPerEU: 1
; Occupancy: 16
; WaveLimiterHint : 0
; COMPUTE_PGM_RSRC2:SCRATCH_EN: 0
; COMPUTE_PGM_RSRC2:USER_SGPR: 6
; COMPUTE_PGM_RSRC2:TRAP_HANDLER: 0
; COMPUTE_PGM_RSRC2:TGID_X_EN: 1
; COMPUTE_PGM_RSRC2:TGID_Y_EN: 0
; COMPUTE_PGM_RSRC2:TGID_Z_EN: 0
; COMPUTE_PGM_RSRC2:TIDIG_COMP_CNT: 0
	.section	.text._ZN7rocprim17ROCPRIM_400000_NS6detail17trampoline_kernelINS0_14default_configENS1_27scan_by_key_config_selectorImiEEZZNS1_16scan_by_key_implILNS1_25lookback_scan_determinismE0ELb0ES3_N6thrust23THRUST_200600_302600_NS18transform_iteratorI9row_indexNS9_17counting_iteratorImNS9_11use_defaultESD_SD_EESD_SD_EENS9_6detail15normal_iteratorINS9_10device_ptrIiEEEESK_iNS9_4plusIvEENS9_8equal_toIvEEiEE10hipError_tPvRmT2_T3_T4_T5_mT6_T7_P12ihipStream_tbENKUlT_T0_E_clISt17integral_constantIbLb0EES15_EEDaS10_S11_EUlS10_E_NS1_11comp_targetILNS1_3genE9ELNS1_11target_archE1100ELNS1_3gpuE3ELNS1_3repE0EEENS1_30default_config_static_selectorELNS0_4arch9wavefront6targetE0EEEvT1_,"axG",@progbits,_ZN7rocprim17ROCPRIM_400000_NS6detail17trampoline_kernelINS0_14default_configENS1_27scan_by_key_config_selectorImiEEZZNS1_16scan_by_key_implILNS1_25lookback_scan_determinismE0ELb0ES3_N6thrust23THRUST_200600_302600_NS18transform_iteratorI9row_indexNS9_17counting_iteratorImNS9_11use_defaultESD_SD_EESD_SD_EENS9_6detail15normal_iteratorINS9_10device_ptrIiEEEESK_iNS9_4plusIvEENS9_8equal_toIvEEiEE10hipError_tPvRmT2_T3_T4_T5_mT6_T7_P12ihipStream_tbENKUlT_T0_E_clISt17integral_constantIbLb0EES15_EEDaS10_S11_EUlS10_E_NS1_11comp_targetILNS1_3genE9ELNS1_11target_archE1100ELNS1_3gpuE3ELNS1_3repE0EEENS1_30default_config_static_selectorELNS0_4arch9wavefront6targetE0EEEvT1_,comdat
	.protected	_ZN7rocprim17ROCPRIM_400000_NS6detail17trampoline_kernelINS0_14default_configENS1_27scan_by_key_config_selectorImiEEZZNS1_16scan_by_key_implILNS1_25lookback_scan_determinismE0ELb0ES3_N6thrust23THRUST_200600_302600_NS18transform_iteratorI9row_indexNS9_17counting_iteratorImNS9_11use_defaultESD_SD_EESD_SD_EENS9_6detail15normal_iteratorINS9_10device_ptrIiEEEESK_iNS9_4plusIvEENS9_8equal_toIvEEiEE10hipError_tPvRmT2_T3_T4_T5_mT6_T7_P12ihipStream_tbENKUlT_T0_E_clISt17integral_constantIbLb0EES15_EEDaS10_S11_EUlS10_E_NS1_11comp_targetILNS1_3genE9ELNS1_11target_archE1100ELNS1_3gpuE3ELNS1_3repE0EEENS1_30default_config_static_selectorELNS0_4arch9wavefront6targetE0EEEvT1_ ; -- Begin function _ZN7rocprim17ROCPRIM_400000_NS6detail17trampoline_kernelINS0_14default_configENS1_27scan_by_key_config_selectorImiEEZZNS1_16scan_by_key_implILNS1_25lookback_scan_determinismE0ELb0ES3_N6thrust23THRUST_200600_302600_NS18transform_iteratorI9row_indexNS9_17counting_iteratorImNS9_11use_defaultESD_SD_EESD_SD_EENS9_6detail15normal_iteratorINS9_10device_ptrIiEEEESK_iNS9_4plusIvEENS9_8equal_toIvEEiEE10hipError_tPvRmT2_T3_T4_T5_mT6_T7_P12ihipStream_tbENKUlT_T0_E_clISt17integral_constantIbLb0EES15_EEDaS10_S11_EUlS10_E_NS1_11comp_targetILNS1_3genE9ELNS1_11target_archE1100ELNS1_3gpuE3ELNS1_3repE0EEENS1_30default_config_static_selectorELNS0_4arch9wavefront6targetE0EEEvT1_
	.globl	_ZN7rocprim17ROCPRIM_400000_NS6detail17trampoline_kernelINS0_14default_configENS1_27scan_by_key_config_selectorImiEEZZNS1_16scan_by_key_implILNS1_25lookback_scan_determinismE0ELb0ES3_N6thrust23THRUST_200600_302600_NS18transform_iteratorI9row_indexNS9_17counting_iteratorImNS9_11use_defaultESD_SD_EESD_SD_EENS9_6detail15normal_iteratorINS9_10device_ptrIiEEEESK_iNS9_4plusIvEENS9_8equal_toIvEEiEE10hipError_tPvRmT2_T3_T4_T5_mT6_T7_P12ihipStream_tbENKUlT_T0_E_clISt17integral_constantIbLb0EES15_EEDaS10_S11_EUlS10_E_NS1_11comp_targetILNS1_3genE9ELNS1_11target_archE1100ELNS1_3gpuE3ELNS1_3repE0EEENS1_30default_config_static_selectorELNS0_4arch9wavefront6targetE0EEEvT1_
	.p2align	8
	.type	_ZN7rocprim17ROCPRIM_400000_NS6detail17trampoline_kernelINS0_14default_configENS1_27scan_by_key_config_selectorImiEEZZNS1_16scan_by_key_implILNS1_25lookback_scan_determinismE0ELb0ES3_N6thrust23THRUST_200600_302600_NS18transform_iteratorI9row_indexNS9_17counting_iteratorImNS9_11use_defaultESD_SD_EESD_SD_EENS9_6detail15normal_iteratorINS9_10device_ptrIiEEEESK_iNS9_4plusIvEENS9_8equal_toIvEEiEE10hipError_tPvRmT2_T3_T4_T5_mT6_T7_P12ihipStream_tbENKUlT_T0_E_clISt17integral_constantIbLb0EES15_EEDaS10_S11_EUlS10_E_NS1_11comp_targetILNS1_3genE9ELNS1_11target_archE1100ELNS1_3gpuE3ELNS1_3repE0EEENS1_30default_config_static_selectorELNS0_4arch9wavefront6targetE0EEEvT1_,@function
_ZN7rocprim17ROCPRIM_400000_NS6detail17trampoline_kernelINS0_14default_configENS1_27scan_by_key_config_selectorImiEEZZNS1_16scan_by_key_implILNS1_25lookback_scan_determinismE0ELb0ES3_N6thrust23THRUST_200600_302600_NS18transform_iteratorI9row_indexNS9_17counting_iteratorImNS9_11use_defaultESD_SD_EESD_SD_EENS9_6detail15normal_iteratorINS9_10device_ptrIiEEEESK_iNS9_4plusIvEENS9_8equal_toIvEEiEE10hipError_tPvRmT2_T3_T4_T5_mT6_T7_P12ihipStream_tbENKUlT_T0_E_clISt17integral_constantIbLb0EES15_EEDaS10_S11_EUlS10_E_NS1_11comp_targetILNS1_3genE9ELNS1_11target_archE1100ELNS1_3gpuE3ELNS1_3repE0EEENS1_30default_config_static_selectorELNS0_4arch9wavefront6targetE0EEEvT1_: ; @_ZN7rocprim17ROCPRIM_400000_NS6detail17trampoline_kernelINS0_14default_configENS1_27scan_by_key_config_selectorImiEEZZNS1_16scan_by_key_implILNS1_25lookback_scan_determinismE0ELb0ES3_N6thrust23THRUST_200600_302600_NS18transform_iteratorI9row_indexNS9_17counting_iteratorImNS9_11use_defaultESD_SD_EESD_SD_EENS9_6detail15normal_iteratorINS9_10device_ptrIiEEEESK_iNS9_4plusIvEENS9_8equal_toIvEEiEE10hipError_tPvRmT2_T3_T4_T5_mT6_T7_P12ihipStream_tbENKUlT_T0_E_clISt17integral_constantIbLb0EES15_EEDaS10_S11_EUlS10_E_NS1_11comp_targetILNS1_3genE9ELNS1_11target_archE1100ELNS1_3gpuE3ELNS1_3repE0EEENS1_30default_config_static_selectorELNS0_4arch9wavefront6targetE0EEEvT1_
; %bb.0:
	.section	.rodata,"a",@progbits
	.p2align	6, 0x0
	.amdhsa_kernel _ZN7rocprim17ROCPRIM_400000_NS6detail17trampoline_kernelINS0_14default_configENS1_27scan_by_key_config_selectorImiEEZZNS1_16scan_by_key_implILNS1_25lookback_scan_determinismE0ELb0ES3_N6thrust23THRUST_200600_302600_NS18transform_iteratorI9row_indexNS9_17counting_iteratorImNS9_11use_defaultESD_SD_EESD_SD_EENS9_6detail15normal_iteratorINS9_10device_ptrIiEEEESK_iNS9_4plusIvEENS9_8equal_toIvEEiEE10hipError_tPvRmT2_T3_T4_T5_mT6_T7_P12ihipStream_tbENKUlT_T0_E_clISt17integral_constantIbLb0EES15_EEDaS10_S11_EUlS10_E_NS1_11comp_targetILNS1_3genE9ELNS1_11target_archE1100ELNS1_3gpuE3ELNS1_3repE0EEENS1_30default_config_static_selectorELNS0_4arch9wavefront6targetE0EEEvT1_
		.amdhsa_group_segment_fixed_size 0
		.amdhsa_private_segment_fixed_size 0
		.amdhsa_kernarg_size 120
		.amdhsa_user_sgpr_count 6
		.amdhsa_user_sgpr_private_segment_buffer 1
		.amdhsa_user_sgpr_dispatch_ptr 0
		.amdhsa_user_sgpr_queue_ptr 0
		.amdhsa_user_sgpr_kernarg_segment_ptr 1
		.amdhsa_user_sgpr_dispatch_id 0
		.amdhsa_user_sgpr_flat_scratch_init 0
		.amdhsa_user_sgpr_private_segment_size 0
		.amdhsa_wavefront_size32 1
		.amdhsa_uses_dynamic_stack 0
		.amdhsa_system_sgpr_private_segment_wavefront_offset 0
		.amdhsa_system_sgpr_workgroup_id_x 1
		.amdhsa_system_sgpr_workgroup_id_y 0
		.amdhsa_system_sgpr_workgroup_id_z 0
		.amdhsa_system_sgpr_workgroup_info 0
		.amdhsa_system_vgpr_workitem_id 0
		.amdhsa_next_free_vgpr 1
		.amdhsa_next_free_sgpr 1
		.amdhsa_reserve_vcc 0
		.amdhsa_reserve_flat_scratch 0
		.amdhsa_float_round_mode_32 0
		.amdhsa_float_round_mode_16_64 0
		.amdhsa_float_denorm_mode_32 3
		.amdhsa_float_denorm_mode_16_64 3
		.amdhsa_dx10_clamp 1
		.amdhsa_ieee_mode 1
		.amdhsa_fp16_overflow 0
		.amdhsa_workgroup_processor_mode 1
		.amdhsa_memory_ordered 1
		.amdhsa_forward_progress 1
		.amdhsa_shared_vgpr_count 0
		.amdhsa_exception_fp_ieee_invalid_op 0
		.amdhsa_exception_fp_denorm_src 0
		.amdhsa_exception_fp_ieee_div_zero 0
		.amdhsa_exception_fp_ieee_overflow 0
		.amdhsa_exception_fp_ieee_underflow 0
		.amdhsa_exception_fp_ieee_inexact 0
		.amdhsa_exception_int_div_zero 0
	.end_amdhsa_kernel
	.section	.text._ZN7rocprim17ROCPRIM_400000_NS6detail17trampoline_kernelINS0_14default_configENS1_27scan_by_key_config_selectorImiEEZZNS1_16scan_by_key_implILNS1_25lookback_scan_determinismE0ELb0ES3_N6thrust23THRUST_200600_302600_NS18transform_iteratorI9row_indexNS9_17counting_iteratorImNS9_11use_defaultESD_SD_EESD_SD_EENS9_6detail15normal_iteratorINS9_10device_ptrIiEEEESK_iNS9_4plusIvEENS9_8equal_toIvEEiEE10hipError_tPvRmT2_T3_T4_T5_mT6_T7_P12ihipStream_tbENKUlT_T0_E_clISt17integral_constantIbLb0EES15_EEDaS10_S11_EUlS10_E_NS1_11comp_targetILNS1_3genE9ELNS1_11target_archE1100ELNS1_3gpuE3ELNS1_3repE0EEENS1_30default_config_static_selectorELNS0_4arch9wavefront6targetE0EEEvT1_,"axG",@progbits,_ZN7rocprim17ROCPRIM_400000_NS6detail17trampoline_kernelINS0_14default_configENS1_27scan_by_key_config_selectorImiEEZZNS1_16scan_by_key_implILNS1_25lookback_scan_determinismE0ELb0ES3_N6thrust23THRUST_200600_302600_NS18transform_iteratorI9row_indexNS9_17counting_iteratorImNS9_11use_defaultESD_SD_EESD_SD_EENS9_6detail15normal_iteratorINS9_10device_ptrIiEEEESK_iNS9_4plusIvEENS9_8equal_toIvEEiEE10hipError_tPvRmT2_T3_T4_T5_mT6_T7_P12ihipStream_tbENKUlT_T0_E_clISt17integral_constantIbLb0EES15_EEDaS10_S11_EUlS10_E_NS1_11comp_targetILNS1_3genE9ELNS1_11target_archE1100ELNS1_3gpuE3ELNS1_3repE0EEENS1_30default_config_static_selectorELNS0_4arch9wavefront6targetE0EEEvT1_,comdat
.Lfunc_end10:
	.size	_ZN7rocprim17ROCPRIM_400000_NS6detail17trampoline_kernelINS0_14default_configENS1_27scan_by_key_config_selectorImiEEZZNS1_16scan_by_key_implILNS1_25lookback_scan_determinismE0ELb0ES3_N6thrust23THRUST_200600_302600_NS18transform_iteratorI9row_indexNS9_17counting_iteratorImNS9_11use_defaultESD_SD_EESD_SD_EENS9_6detail15normal_iteratorINS9_10device_ptrIiEEEESK_iNS9_4plusIvEENS9_8equal_toIvEEiEE10hipError_tPvRmT2_T3_T4_T5_mT6_T7_P12ihipStream_tbENKUlT_T0_E_clISt17integral_constantIbLb0EES15_EEDaS10_S11_EUlS10_E_NS1_11comp_targetILNS1_3genE9ELNS1_11target_archE1100ELNS1_3gpuE3ELNS1_3repE0EEENS1_30default_config_static_selectorELNS0_4arch9wavefront6targetE0EEEvT1_, .Lfunc_end10-_ZN7rocprim17ROCPRIM_400000_NS6detail17trampoline_kernelINS0_14default_configENS1_27scan_by_key_config_selectorImiEEZZNS1_16scan_by_key_implILNS1_25lookback_scan_determinismE0ELb0ES3_N6thrust23THRUST_200600_302600_NS18transform_iteratorI9row_indexNS9_17counting_iteratorImNS9_11use_defaultESD_SD_EESD_SD_EENS9_6detail15normal_iteratorINS9_10device_ptrIiEEEESK_iNS9_4plusIvEENS9_8equal_toIvEEiEE10hipError_tPvRmT2_T3_T4_T5_mT6_T7_P12ihipStream_tbENKUlT_T0_E_clISt17integral_constantIbLb0EES15_EEDaS10_S11_EUlS10_E_NS1_11comp_targetILNS1_3genE9ELNS1_11target_archE1100ELNS1_3gpuE3ELNS1_3repE0EEENS1_30default_config_static_selectorELNS0_4arch9wavefront6targetE0EEEvT1_
                                        ; -- End function
	.set _ZN7rocprim17ROCPRIM_400000_NS6detail17trampoline_kernelINS0_14default_configENS1_27scan_by_key_config_selectorImiEEZZNS1_16scan_by_key_implILNS1_25lookback_scan_determinismE0ELb0ES3_N6thrust23THRUST_200600_302600_NS18transform_iteratorI9row_indexNS9_17counting_iteratorImNS9_11use_defaultESD_SD_EESD_SD_EENS9_6detail15normal_iteratorINS9_10device_ptrIiEEEESK_iNS9_4plusIvEENS9_8equal_toIvEEiEE10hipError_tPvRmT2_T3_T4_T5_mT6_T7_P12ihipStream_tbENKUlT_T0_E_clISt17integral_constantIbLb0EES15_EEDaS10_S11_EUlS10_E_NS1_11comp_targetILNS1_3genE9ELNS1_11target_archE1100ELNS1_3gpuE3ELNS1_3repE0EEENS1_30default_config_static_selectorELNS0_4arch9wavefront6targetE0EEEvT1_.num_vgpr, 0
	.set _ZN7rocprim17ROCPRIM_400000_NS6detail17trampoline_kernelINS0_14default_configENS1_27scan_by_key_config_selectorImiEEZZNS1_16scan_by_key_implILNS1_25lookback_scan_determinismE0ELb0ES3_N6thrust23THRUST_200600_302600_NS18transform_iteratorI9row_indexNS9_17counting_iteratorImNS9_11use_defaultESD_SD_EESD_SD_EENS9_6detail15normal_iteratorINS9_10device_ptrIiEEEESK_iNS9_4plusIvEENS9_8equal_toIvEEiEE10hipError_tPvRmT2_T3_T4_T5_mT6_T7_P12ihipStream_tbENKUlT_T0_E_clISt17integral_constantIbLb0EES15_EEDaS10_S11_EUlS10_E_NS1_11comp_targetILNS1_3genE9ELNS1_11target_archE1100ELNS1_3gpuE3ELNS1_3repE0EEENS1_30default_config_static_selectorELNS0_4arch9wavefront6targetE0EEEvT1_.num_agpr, 0
	.set _ZN7rocprim17ROCPRIM_400000_NS6detail17trampoline_kernelINS0_14default_configENS1_27scan_by_key_config_selectorImiEEZZNS1_16scan_by_key_implILNS1_25lookback_scan_determinismE0ELb0ES3_N6thrust23THRUST_200600_302600_NS18transform_iteratorI9row_indexNS9_17counting_iteratorImNS9_11use_defaultESD_SD_EESD_SD_EENS9_6detail15normal_iteratorINS9_10device_ptrIiEEEESK_iNS9_4plusIvEENS9_8equal_toIvEEiEE10hipError_tPvRmT2_T3_T4_T5_mT6_T7_P12ihipStream_tbENKUlT_T0_E_clISt17integral_constantIbLb0EES15_EEDaS10_S11_EUlS10_E_NS1_11comp_targetILNS1_3genE9ELNS1_11target_archE1100ELNS1_3gpuE3ELNS1_3repE0EEENS1_30default_config_static_selectorELNS0_4arch9wavefront6targetE0EEEvT1_.numbered_sgpr, 0
	.set _ZN7rocprim17ROCPRIM_400000_NS6detail17trampoline_kernelINS0_14default_configENS1_27scan_by_key_config_selectorImiEEZZNS1_16scan_by_key_implILNS1_25lookback_scan_determinismE0ELb0ES3_N6thrust23THRUST_200600_302600_NS18transform_iteratorI9row_indexNS9_17counting_iteratorImNS9_11use_defaultESD_SD_EESD_SD_EENS9_6detail15normal_iteratorINS9_10device_ptrIiEEEESK_iNS9_4plusIvEENS9_8equal_toIvEEiEE10hipError_tPvRmT2_T3_T4_T5_mT6_T7_P12ihipStream_tbENKUlT_T0_E_clISt17integral_constantIbLb0EES15_EEDaS10_S11_EUlS10_E_NS1_11comp_targetILNS1_3genE9ELNS1_11target_archE1100ELNS1_3gpuE3ELNS1_3repE0EEENS1_30default_config_static_selectorELNS0_4arch9wavefront6targetE0EEEvT1_.num_named_barrier, 0
	.set _ZN7rocprim17ROCPRIM_400000_NS6detail17trampoline_kernelINS0_14default_configENS1_27scan_by_key_config_selectorImiEEZZNS1_16scan_by_key_implILNS1_25lookback_scan_determinismE0ELb0ES3_N6thrust23THRUST_200600_302600_NS18transform_iteratorI9row_indexNS9_17counting_iteratorImNS9_11use_defaultESD_SD_EESD_SD_EENS9_6detail15normal_iteratorINS9_10device_ptrIiEEEESK_iNS9_4plusIvEENS9_8equal_toIvEEiEE10hipError_tPvRmT2_T3_T4_T5_mT6_T7_P12ihipStream_tbENKUlT_T0_E_clISt17integral_constantIbLb0EES15_EEDaS10_S11_EUlS10_E_NS1_11comp_targetILNS1_3genE9ELNS1_11target_archE1100ELNS1_3gpuE3ELNS1_3repE0EEENS1_30default_config_static_selectorELNS0_4arch9wavefront6targetE0EEEvT1_.private_seg_size, 0
	.set _ZN7rocprim17ROCPRIM_400000_NS6detail17trampoline_kernelINS0_14default_configENS1_27scan_by_key_config_selectorImiEEZZNS1_16scan_by_key_implILNS1_25lookback_scan_determinismE0ELb0ES3_N6thrust23THRUST_200600_302600_NS18transform_iteratorI9row_indexNS9_17counting_iteratorImNS9_11use_defaultESD_SD_EESD_SD_EENS9_6detail15normal_iteratorINS9_10device_ptrIiEEEESK_iNS9_4plusIvEENS9_8equal_toIvEEiEE10hipError_tPvRmT2_T3_T4_T5_mT6_T7_P12ihipStream_tbENKUlT_T0_E_clISt17integral_constantIbLb0EES15_EEDaS10_S11_EUlS10_E_NS1_11comp_targetILNS1_3genE9ELNS1_11target_archE1100ELNS1_3gpuE3ELNS1_3repE0EEENS1_30default_config_static_selectorELNS0_4arch9wavefront6targetE0EEEvT1_.uses_vcc, 0
	.set _ZN7rocprim17ROCPRIM_400000_NS6detail17trampoline_kernelINS0_14default_configENS1_27scan_by_key_config_selectorImiEEZZNS1_16scan_by_key_implILNS1_25lookback_scan_determinismE0ELb0ES3_N6thrust23THRUST_200600_302600_NS18transform_iteratorI9row_indexNS9_17counting_iteratorImNS9_11use_defaultESD_SD_EESD_SD_EENS9_6detail15normal_iteratorINS9_10device_ptrIiEEEESK_iNS9_4plusIvEENS9_8equal_toIvEEiEE10hipError_tPvRmT2_T3_T4_T5_mT6_T7_P12ihipStream_tbENKUlT_T0_E_clISt17integral_constantIbLb0EES15_EEDaS10_S11_EUlS10_E_NS1_11comp_targetILNS1_3genE9ELNS1_11target_archE1100ELNS1_3gpuE3ELNS1_3repE0EEENS1_30default_config_static_selectorELNS0_4arch9wavefront6targetE0EEEvT1_.uses_flat_scratch, 0
	.set _ZN7rocprim17ROCPRIM_400000_NS6detail17trampoline_kernelINS0_14default_configENS1_27scan_by_key_config_selectorImiEEZZNS1_16scan_by_key_implILNS1_25lookback_scan_determinismE0ELb0ES3_N6thrust23THRUST_200600_302600_NS18transform_iteratorI9row_indexNS9_17counting_iteratorImNS9_11use_defaultESD_SD_EESD_SD_EENS9_6detail15normal_iteratorINS9_10device_ptrIiEEEESK_iNS9_4plusIvEENS9_8equal_toIvEEiEE10hipError_tPvRmT2_T3_T4_T5_mT6_T7_P12ihipStream_tbENKUlT_T0_E_clISt17integral_constantIbLb0EES15_EEDaS10_S11_EUlS10_E_NS1_11comp_targetILNS1_3genE9ELNS1_11target_archE1100ELNS1_3gpuE3ELNS1_3repE0EEENS1_30default_config_static_selectorELNS0_4arch9wavefront6targetE0EEEvT1_.has_dyn_sized_stack, 0
	.set _ZN7rocprim17ROCPRIM_400000_NS6detail17trampoline_kernelINS0_14default_configENS1_27scan_by_key_config_selectorImiEEZZNS1_16scan_by_key_implILNS1_25lookback_scan_determinismE0ELb0ES3_N6thrust23THRUST_200600_302600_NS18transform_iteratorI9row_indexNS9_17counting_iteratorImNS9_11use_defaultESD_SD_EESD_SD_EENS9_6detail15normal_iteratorINS9_10device_ptrIiEEEESK_iNS9_4plusIvEENS9_8equal_toIvEEiEE10hipError_tPvRmT2_T3_T4_T5_mT6_T7_P12ihipStream_tbENKUlT_T0_E_clISt17integral_constantIbLb0EES15_EEDaS10_S11_EUlS10_E_NS1_11comp_targetILNS1_3genE9ELNS1_11target_archE1100ELNS1_3gpuE3ELNS1_3repE0EEENS1_30default_config_static_selectorELNS0_4arch9wavefront6targetE0EEEvT1_.has_recursion, 0
	.set _ZN7rocprim17ROCPRIM_400000_NS6detail17trampoline_kernelINS0_14default_configENS1_27scan_by_key_config_selectorImiEEZZNS1_16scan_by_key_implILNS1_25lookback_scan_determinismE0ELb0ES3_N6thrust23THRUST_200600_302600_NS18transform_iteratorI9row_indexNS9_17counting_iteratorImNS9_11use_defaultESD_SD_EESD_SD_EENS9_6detail15normal_iteratorINS9_10device_ptrIiEEEESK_iNS9_4plusIvEENS9_8equal_toIvEEiEE10hipError_tPvRmT2_T3_T4_T5_mT6_T7_P12ihipStream_tbENKUlT_T0_E_clISt17integral_constantIbLb0EES15_EEDaS10_S11_EUlS10_E_NS1_11comp_targetILNS1_3genE9ELNS1_11target_archE1100ELNS1_3gpuE3ELNS1_3repE0EEENS1_30default_config_static_selectorELNS0_4arch9wavefront6targetE0EEEvT1_.has_indirect_call, 0
	.section	.AMDGPU.csdata,"",@progbits
; Kernel info:
; codeLenInByte = 0
; TotalNumSgprs: 0
; NumVgprs: 0
; ScratchSize: 0
; MemoryBound: 0
; FloatMode: 240
; IeeeMode: 1
; LDSByteSize: 0 bytes/workgroup (compile time only)
; SGPRBlocks: 0
; VGPRBlocks: 0
; NumSGPRsForWavesPerEU: 1
; NumVGPRsForWavesPerEU: 1
; Occupancy: 16
; WaveLimiterHint : 0
; COMPUTE_PGM_RSRC2:SCRATCH_EN: 0
; COMPUTE_PGM_RSRC2:USER_SGPR: 6
; COMPUTE_PGM_RSRC2:TRAP_HANDLER: 0
; COMPUTE_PGM_RSRC2:TGID_X_EN: 1
; COMPUTE_PGM_RSRC2:TGID_Y_EN: 0
; COMPUTE_PGM_RSRC2:TGID_Z_EN: 0
; COMPUTE_PGM_RSRC2:TIDIG_COMP_CNT: 0
	.section	.text._ZN7rocprim17ROCPRIM_400000_NS6detail17trampoline_kernelINS0_14default_configENS1_27scan_by_key_config_selectorImiEEZZNS1_16scan_by_key_implILNS1_25lookback_scan_determinismE0ELb0ES3_N6thrust23THRUST_200600_302600_NS18transform_iteratorI9row_indexNS9_17counting_iteratorImNS9_11use_defaultESD_SD_EESD_SD_EENS9_6detail15normal_iteratorINS9_10device_ptrIiEEEESK_iNS9_4plusIvEENS9_8equal_toIvEEiEE10hipError_tPvRmT2_T3_T4_T5_mT6_T7_P12ihipStream_tbENKUlT_T0_E_clISt17integral_constantIbLb0EES15_EEDaS10_S11_EUlS10_E_NS1_11comp_targetILNS1_3genE8ELNS1_11target_archE1030ELNS1_3gpuE2ELNS1_3repE0EEENS1_30default_config_static_selectorELNS0_4arch9wavefront6targetE0EEEvT1_,"axG",@progbits,_ZN7rocprim17ROCPRIM_400000_NS6detail17trampoline_kernelINS0_14default_configENS1_27scan_by_key_config_selectorImiEEZZNS1_16scan_by_key_implILNS1_25lookback_scan_determinismE0ELb0ES3_N6thrust23THRUST_200600_302600_NS18transform_iteratorI9row_indexNS9_17counting_iteratorImNS9_11use_defaultESD_SD_EESD_SD_EENS9_6detail15normal_iteratorINS9_10device_ptrIiEEEESK_iNS9_4plusIvEENS9_8equal_toIvEEiEE10hipError_tPvRmT2_T3_T4_T5_mT6_T7_P12ihipStream_tbENKUlT_T0_E_clISt17integral_constantIbLb0EES15_EEDaS10_S11_EUlS10_E_NS1_11comp_targetILNS1_3genE8ELNS1_11target_archE1030ELNS1_3gpuE2ELNS1_3repE0EEENS1_30default_config_static_selectorELNS0_4arch9wavefront6targetE0EEEvT1_,comdat
	.protected	_ZN7rocprim17ROCPRIM_400000_NS6detail17trampoline_kernelINS0_14default_configENS1_27scan_by_key_config_selectorImiEEZZNS1_16scan_by_key_implILNS1_25lookback_scan_determinismE0ELb0ES3_N6thrust23THRUST_200600_302600_NS18transform_iteratorI9row_indexNS9_17counting_iteratorImNS9_11use_defaultESD_SD_EESD_SD_EENS9_6detail15normal_iteratorINS9_10device_ptrIiEEEESK_iNS9_4plusIvEENS9_8equal_toIvEEiEE10hipError_tPvRmT2_T3_T4_T5_mT6_T7_P12ihipStream_tbENKUlT_T0_E_clISt17integral_constantIbLb0EES15_EEDaS10_S11_EUlS10_E_NS1_11comp_targetILNS1_3genE8ELNS1_11target_archE1030ELNS1_3gpuE2ELNS1_3repE0EEENS1_30default_config_static_selectorELNS0_4arch9wavefront6targetE0EEEvT1_ ; -- Begin function _ZN7rocprim17ROCPRIM_400000_NS6detail17trampoline_kernelINS0_14default_configENS1_27scan_by_key_config_selectorImiEEZZNS1_16scan_by_key_implILNS1_25lookback_scan_determinismE0ELb0ES3_N6thrust23THRUST_200600_302600_NS18transform_iteratorI9row_indexNS9_17counting_iteratorImNS9_11use_defaultESD_SD_EESD_SD_EENS9_6detail15normal_iteratorINS9_10device_ptrIiEEEESK_iNS9_4plusIvEENS9_8equal_toIvEEiEE10hipError_tPvRmT2_T3_T4_T5_mT6_T7_P12ihipStream_tbENKUlT_T0_E_clISt17integral_constantIbLb0EES15_EEDaS10_S11_EUlS10_E_NS1_11comp_targetILNS1_3genE8ELNS1_11target_archE1030ELNS1_3gpuE2ELNS1_3repE0EEENS1_30default_config_static_selectorELNS0_4arch9wavefront6targetE0EEEvT1_
	.globl	_ZN7rocprim17ROCPRIM_400000_NS6detail17trampoline_kernelINS0_14default_configENS1_27scan_by_key_config_selectorImiEEZZNS1_16scan_by_key_implILNS1_25lookback_scan_determinismE0ELb0ES3_N6thrust23THRUST_200600_302600_NS18transform_iteratorI9row_indexNS9_17counting_iteratorImNS9_11use_defaultESD_SD_EESD_SD_EENS9_6detail15normal_iteratorINS9_10device_ptrIiEEEESK_iNS9_4plusIvEENS9_8equal_toIvEEiEE10hipError_tPvRmT2_T3_T4_T5_mT6_T7_P12ihipStream_tbENKUlT_T0_E_clISt17integral_constantIbLb0EES15_EEDaS10_S11_EUlS10_E_NS1_11comp_targetILNS1_3genE8ELNS1_11target_archE1030ELNS1_3gpuE2ELNS1_3repE0EEENS1_30default_config_static_selectorELNS0_4arch9wavefront6targetE0EEEvT1_
	.p2align	8
	.type	_ZN7rocprim17ROCPRIM_400000_NS6detail17trampoline_kernelINS0_14default_configENS1_27scan_by_key_config_selectorImiEEZZNS1_16scan_by_key_implILNS1_25lookback_scan_determinismE0ELb0ES3_N6thrust23THRUST_200600_302600_NS18transform_iteratorI9row_indexNS9_17counting_iteratorImNS9_11use_defaultESD_SD_EESD_SD_EENS9_6detail15normal_iteratorINS9_10device_ptrIiEEEESK_iNS9_4plusIvEENS9_8equal_toIvEEiEE10hipError_tPvRmT2_T3_T4_T5_mT6_T7_P12ihipStream_tbENKUlT_T0_E_clISt17integral_constantIbLb0EES15_EEDaS10_S11_EUlS10_E_NS1_11comp_targetILNS1_3genE8ELNS1_11target_archE1030ELNS1_3gpuE2ELNS1_3repE0EEENS1_30default_config_static_selectorELNS0_4arch9wavefront6targetE0EEEvT1_,@function
_ZN7rocprim17ROCPRIM_400000_NS6detail17trampoline_kernelINS0_14default_configENS1_27scan_by_key_config_selectorImiEEZZNS1_16scan_by_key_implILNS1_25lookback_scan_determinismE0ELb0ES3_N6thrust23THRUST_200600_302600_NS18transform_iteratorI9row_indexNS9_17counting_iteratorImNS9_11use_defaultESD_SD_EESD_SD_EENS9_6detail15normal_iteratorINS9_10device_ptrIiEEEESK_iNS9_4plusIvEENS9_8equal_toIvEEiEE10hipError_tPvRmT2_T3_T4_T5_mT6_T7_P12ihipStream_tbENKUlT_T0_E_clISt17integral_constantIbLb0EES15_EEDaS10_S11_EUlS10_E_NS1_11comp_targetILNS1_3genE8ELNS1_11target_archE1030ELNS1_3gpuE2ELNS1_3repE0EEENS1_30default_config_static_selectorELNS0_4arch9wavefront6targetE0EEEvT1_: ; @_ZN7rocprim17ROCPRIM_400000_NS6detail17trampoline_kernelINS0_14default_configENS1_27scan_by_key_config_selectorImiEEZZNS1_16scan_by_key_implILNS1_25lookback_scan_determinismE0ELb0ES3_N6thrust23THRUST_200600_302600_NS18transform_iteratorI9row_indexNS9_17counting_iteratorImNS9_11use_defaultESD_SD_EESD_SD_EENS9_6detail15normal_iteratorINS9_10device_ptrIiEEEESK_iNS9_4plusIvEENS9_8equal_toIvEEiEE10hipError_tPvRmT2_T3_T4_T5_mT6_T7_P12ihipStream_tbENKUlT_T0_E_clISt17integral_constantIbLb0EES15_EEDaS10_S11_EUlS10_E_NS1_11comp_targetILNS1_3genE8ELNS1_11target_archE1030ELNS1_3gpuE2ELNS1_3repE0EEENS1_30default_config_static_selectorELNS0_4arch9wavefront6targetE0EEEvT1_
; %bb.0:
	s_clause 0x4
	s_load_dwordx8 s[16:23], s[4:5], 0x0
	s_load_dwordx2 s[30:31], s[4:5], 0x40
	s_load_dword s2, s[4:5], 0x48
	s_load_dwordx8 s[8:15], s[4:5], 0x50
	s_load_dwordx4 s[24:27], s[4:5], 0x30
	s_mov_b32 s1, 0
	s_waitcnt lgkmcnt(0)
	s_barrier
	buffer_gl0_inv
	s_lshl_b64 s[28:29], s[20:21], 2
	s_mul_i32 s0, s31, s2
	s_mul_hi_u32 s3, s30, s2
	s_add_u32 s7, s22, s28
	s_addc_u32 s22, s23, s29
	s_add_i32 s3, s3, s0
	s_cmp_lg_u64 s[12:13], 0
	s_mul_i32 s0, s6, 0x300
	s_cselect_b32 s37, -1, 0
	s_add_u32 s12, s16, s0
	s_addc_u32 s13, s17, 0
	s_add_u32 s16, s12, s20
	s_addc_u32 s17, s13, s21
	s_lshl_b64 s[12:13], s[0:1], 2
	s_mul_i32 s0, s30, s2
	s_add_u32 s33, s7, s12
	s_addc_u32 s36, s22, s13
	s_add_u32 s20, s0, s6
	s_addc_u32 s21, s3, 0
	s_add_u32 s2, s8, -1
	s_addc_u32 s3, s9, -1
	s_mul_i32 s27, s2, 0xfffffd00
	v_cmp_ge_u64_e64 s7, s[20:21], s[2:3]
	s_and_b32 vcc_lo, exec_lo, s7
	s_cbranch_vccz .LBB11_25
; %bb.1:
	s_or_b64 s[0:1], s[16:17], s[18:19]
	s_mov_b32 s0, 0
	s_cmp_lg_u64 s[0:1], 0
	s_cbranch_scc0 .LBB11_26
; %bb.2:
	v_cvt_f32_u32_e32 v1, s18
	v_cvt_f32_u32_e32 v2, s19
	s_sub_u32 s3, 0, s18
	s_subb_u32 s8, 0, s19
	v_fmamk_f32 v1, v2, 0x4f800000, v1
	v_rcp_f32_e32 v1, v1
	v_mul_f32_e32 v1, 0x5f7ffffc, v1
	v_mul_f32_e32 v2, 0x2f800000, v1
	v_trunc_f32_e32 v2, v2
	v_fmamk_f32 v1, v2, 0xcf800000, v1
	v_cvt_u32_f32_e32 v2, v2
	v_cvt_u32_f32_e32 v1, v1
	v_readfirstlane_b32 s1, v2
	v_readfirstlane_b32 s2, v1
	s_mul_i32 s9, s3, s1
	s_mul_hi_u32 s23, s3, s2
	s_mul_i32 s22, s8, s2
	s_add_i32 s9, s23, s9
	s_mul_i32 s34, s3, s2
	s_add_i32 s9, s9, s22
	s_mul_hi_u32 s23, s2, s34
	s_mul_i32 s38, s2, s9
	s_mul_hi_u32 s35, s1, s34
	s_mul_i32 s22, s1, s34
	s_mul_hi_u32 s34, s2, s9
	s_add_u32 s23, s23, s38
	s_addc_u32 s34, 0, s34
	s_mul_hi_u32 s39, s1, s9
	s_add_u32 s22, s23, s22
	s_mul_i32 s9, s1, s9
	s_addc_u32 s22, s34, s35
	s_addc_u32 s23, s39, 0
	s_add_u32 s9, s22, s9
	s_addc_u32 s22, 0, s23
	s_add_u32 s2, s2, s9
	s_cselect_b32 s9, -1, 0
	s_mul_hi_u32 s23, s3, s2
	s_cmp_lg_u32 s9, 0
	s_mul_i32 s9, s3, s2
	s_addc_u32 s1, s1, s22
	s_mul_i32 s8, s8, s2
	s_mul_i32 s3, s3, s1
	s_mul_hi_u32 s22, s2, s9
	s_add_i32 s3, s23, s3
	s_mul_hi_u32 s23, s1, s9
	s_add_i32 s3, s3, s8
	s_mul_i32 s8, s1, s9
	s_mul_i32 s35, s2, s3
	s_mul_hi_u32 s34, s2, s3
	s_add_u32 s22, s22, s35
	s_addc_u32 s34, 0, s34
	s_mul_hi_u32 s9, s1, s3
	s_add_u32 s8, s22, s8
	s_mul_i32 s3, s1, s3
	s_addc_u32 s8, s34, s23
	s_addc_u32 s9, s9, 0
	s_add_u32 s3, s8, s3
	s_addc_u32 s8, 0, s9
	s_add_u32 s2, s2, s3
	s_cselect_b32 s3, -1, 0
	s_mul_hi_u32 s9, s16, s2
	s_cmp_lg_u32 s3, 0
	s_mul_hi_u32 s3, s17, s2
	s_addc_u32 s1, s1, s8
	s_mul_i32 s2, s17, s2
	s_mul_i32 s22, s16, s1
	s_mul_hi_u32 s8, s16, s1
	s_add_u32 s9, s9, s22
	s_addc_u32 s8, 0, s8
	s_mul_hi_u32 s23, s17, s1
	s_add_u32 s2, s9, s2
	s_mul_i32 s1, s17, s1
	s_addc_u32 s2, s8, s3
	s_addc_u32 s3, s23, 0
	s_add_u32 s1, s2, s1
	s_addc_u32 s2, 0, s3
	s_mul_hi_u32 s3, s18, s1
	s_mul_i32 s8, s18, s2
	s_mul_i32 s9, s19, s1
	s_add_i32 s3, s3, s8
	s_mul_i32 s8, s18, s1
	s_add_i32 s3, s3, s9
	s_sub_i32 s9, s17, s3
	s_sub_u32 s8, s16, s8
	s_cselect_b32 s22, -1, 0
	s_cmp_lg_u32 s22, 0
	s_subb_u32 s9, s9, s19
	s_sub_u32 s23, s8, s18
	s_cselect_b32 s34, -1, 0
	s_cmp_lg_u32 s34, 0
	s_subb_u32 s9, s9, 0
	s_cmp_ge_u32 s9, s19
	s_cselect_b32 s34, -1, 0
	s_cmp_ge_u32 s23, s18
	s_cselect_b32 s23, -1, 0
	s_cmp_eq_u32 s9, s19
	s_cselect_b32 s9, s23, s34
	s_add_u32 s23, s1, 1
	s_addc_u32 s34, s2, 0
	s_add_u32 s35, s1, 2
	s_addc_u32 s38, s2, 0
	s_cmp_lg_u32 s9, 0
	s_cselect_b32 s23, s35, s23
	s_cselect_b32 s9, s38, s34
	s_cmp_lg_u32 s22, 0
	s_subb_u32 s3, s17, s3
	s_cmp_ge_u32 s3, s19
	s_cselect_b32 s22, -1, 0
	s_cmp_ge_u32 s8, s18
	s_cselect_b32 s8, -1, 0
	s_cmp_eq_u32 s3, s19
	s_cselect_b32 s3, s8, s22
	s_cmp_lg_u32 s3, 0
	s_cselect_b32 s9, s9, s2
	s_cselect_b32 s8, s23, s1
	s_andn2_b32 vcc_lo, exec_lo, s0
	s_cbranch_vccnz .LBB11_4
.LBB11_3:
	v_cvt_f32_u32_e32 v1, s18
	s_sub_i32 s1, 0, s18
	s_mov_b32 s9, 0
	v_rcp_iflag_f32_e32 v1, v1
	v_mul_f32_e32 v1, 0x4f7ffffe, v1
	v_cvt_u32_f32_e32 v1, v1
	v_readfirstlane_b32 s0, v1
	s_mul_i32 s1, s1, s0
	s_mul_hi_u32 s1, s0, s1
	s_add_i32 s0, s0, s1
	s_mul_hi_u32 s0, s16, s0
	s_mul_i32 s1, s0, s18
	s_add_i32 s2, s0, 1
	s_sub_i32 s1, s16, s1
	s_sub_i32 s3, s1, s18
	s_cmp_ge_u32 s1, s18
	s_cselect_b32 s0, s2, s0
	s_cselect_b32 s1, s3, s1
	s_add_i32 s2, s0, 1
	s_cmp_ge_u32 s1, s18
	s_cselect_b32 s8, s2, s0
.LBB11_4:
	s_add_i32 s38, s27, s26
	v_mov_b32_e32 v1, s8
	v_cmp_gt_u32_e64 s0, s38, v0
	v_mov_b32_e32 v2, s9
	s_and_saveexec_b32 s2, s0
	s_cbranch_execz .LBB11_10
; %bb.5:
	v_add_co_u32 v3, s1, s16, v0
	v_add_co_ci_u32_e64 v4, null, s17, 0, s1
	v_mov_b32_e32 v1, 0
	v_or_b32_e32 v2, s19, v4
	v_cmp_ne_u64_e32 vcc_lo, 0, v[1:2]
                                        ; implicit-def: $vgpr1_vgpr2
	s_and_saveexec_b32 s1, vcc_lo
	s_xor_b32 s3, exec_lo, s1
	s_cbranch_execz .LBB11_7
; %bb.6:
	v_cvt_f32_u32_e32 v1, s18
	v_cvt_f32_u32_e32 v2, s19
	s_sub_u32 s23, 0, s18
	s_subb_u32 s34, 0, s19
	v_fmamk_f32 v1, v2, 0x4f800000, v1
	v_rcp_f32_e32 v1, v1
	v_mul_f32_e32 v1, 0x5f7ffffc, v1
	v_mul_f32_e32 v2, 0x2f800000, v1
	v_trunc_f32_e32 v2, v2
	v_fmamk_f32 v1, v2, 0xcf800000, v1
	v_cvt_u32_f32_e32 v2, v2
	v_cvt_u32_f32_e32 v1, v1
	v_readfirstlane_b32 s1, v2
	v_readfirstlane_b32 s22, v1
	s_mul_i32 s35, s23, s1
	s_mul_hi_u32 s40, s23, s22
	s_mul_i32 s39, s34, s22
	s_add_i32 s35, s40, s35
	s_mul_i32 s41, s23, s22
	s_add_i32 s35, s35, s39
	s_mul_hi_u32 s40, s22, s41
	s_mul_i32 s43, s22, s35
	s_mul_hi_u32 s42, s1, s41
	s_mul_i32 s39, s1, s41
	s_mul_hi_u32 s41, s22, s35
	s_add_u32 s40, s40, s43
	s_addc_u32 s41, 0, s41
	s_mul_hi_u32 s44, s1, s35
	s_add_u32 s39, s40, s39
	s_mul_i32 s35, s1, s35
	s_addc_u32 s39, s41, s42
	s_addc_u32 s40, s44, 0
	s_add_u32 s35, s39, s35
	s_addc_u32 s39, 0, s40
	s_add_u32 s22, s22, s35
	s_cselect_b32 s35, -1, 0
	s_mul_hi_u32 s40, s23, s22
	s_cmp_lg_u32 s35, 0
	s_mul_i32 s35, s23, s22
	s_addc_u32 s1, s1, s39
	s_mul_i32 s34, s34, s22
	s_mul_i32 s23, s23, s1
	s_mul_hi_u32 s39, s22, s35
	s_add_i32 s23, s40, s23
	s_mul_hi_u32 s40, s1, s35
	s_add_i32 s23, s23, s34
	s_mul_i32 s34, s1, s35
	s_mul_i32 s42, s22, s23
	s_mul_hi_u32 s41, s22, s23
	s_add_u32 s39, s39, s42
	s_addc_u32 s41, 0, s41
	s_mul_hi_u32 s35, s1, s23
	s_add_u32 s34, s39, s34
	s_mul_i32 s23, s1, s23
	s_addc_u32 s34, s41, s40
	s_addc_u32 s35, s35, 0
	s_add_u32 s23, s34, s23
	s_addc_u32 s34, 0, s35
	s_add_u32 s22, s22, s23
	s_cselect_b32 s23, -1, 0
	v_mul_hi_u32 v9, v3, s22
	s_cmp_lg_u32 s23, 0
	v_mad_u64_u32 v[5:6], null, v4, s22, 0
	s_addc_u32 s1, s1, s34
	v_mad_u64_u32 v[1:2], null, v3, s1, 0
	v_mad_u64_u32 v[7:8], null, v4, s1, 0
	v_add_co_u32 v1, vcc_lo, v9, v1
	v_add_co_ci_u32_e64 v2, null, 0, v2, vcc_lo
	v_add_co_u32 v1, vcc_lo, v1, v5
	v_add_co_ci_u32_e32 v1, vcc_lo, v2, v6, vcc_lo
	v_add_co_ci_u32_e32 v2, vcc_lo, 0, v8, vcc_lo
	v_add_co_u32 v5, vcc_lo, v1, v7
	v_add_co_ci_u32_e64 v6, null, 0, v2, vcc_lo
	v_mul_lo_u32 v7, s19, v5
	v_mad_u64_u32 v[1:2], null, s18, v5, 0
	v_mul_lo_u32 v8, s18, v6
	v_sub_co_u32 v1, vcc_lo, v3, v1
	v_add3_u32 v2, v2, v8, v7
	v_sub_nc_u32_e32 v7, v4, v2
	v_sub_co_ci_u32_e64 v2, null, v4, v2, vcc_lo
	v_subrev_co_ci_u32_e64 v3, null, s19, v7, vcc_lo
	v_add_co_u32 v7, s1, v5, 2
	v_add_co_ci_u32_e64 v8, null, 0, v6, s1
	v_sub_co_u32 v9, s1, v1, s18
	v_subrev_co_ci_u32_e64 v3, null, 0, v3, s1
	v_cmp_eq_u32_e64 s1, s19, v2
	v_cmp_le_u32_e32 vcc_lo, s18, v9
	v_cndmask_b32_e64 v4, 0, -1, vcc_lo
	v_cmp_le_u32_e32 vcc_lo, s19, v3
	v_cndmask_b32_e64 v9, 0, -1, vcc_lo
	;; [unrolled: 2-line block ×4, first 2 shown]
	v_cmp_eq_u32_e32 vcc_lo, s19, v3
	v_cndmask_b32_e64 v1, v10, v1, s1
	v_cndmask_b32_e32 v3, v9, v4, vcc_lo
	v_add_co_u32 v4, vcc_lo, v5, 1
	v_add_co_ci_u32_e64 v9, null, 0, v6, vcc_lo
	v_cmp_ne_u32_e32 vcc_lo, 0, v3
	v_cndmask_b32_e32 v2, v9, v8, vcc_lo
	v_cndmask_b32_e32 v3, v4, v7, vcc_lo
	v_cmp_ne_u32_e32 vcc_lo, 0, v1
	v_cndmask_b32_e32 v2, v6, v2, vcc_lo
	v_cndmask_b32_e32 v1, v5, v3, vcc_lo
                                        ; implicit-def: $vgpr3
.LBB11_7:
	s_andn2_saveexec_b32 s1, s3
	s_cbranch_execz .LBB11_9
; %bb.8:
	v_cvt_f32_u32_e32 v1, s18
	s_sub_i32 s3, 0, s18
	v_rcp_iflag_f32_e32 v1, v1
	v_mul_f32_e32 v1, 0x4f7ffffe, v1
	v_cvt_u32_f32_e32 v1, v1
	v_mul_lo_u32 v2, s3, v1
	v_mul_hi_u32 v2, v1, v2
	v_add_nc_u32_e32 v1, v1, v2
	v_mul_hi_u32 v1, v3, v1
	v_mul_lo_u32 v2, v1, s18
	v_sub_nc_u32_e32 v2, v3, v2
	v_add_nc_u32_e32 v3, 1, v1
	v_subrev_nc_u32_e32 v4, s18, v2
	v_cmp_le_u32_e32 vcc_lo, s18, v2
	v_cndmask_b32_e32 v2, v2, v4, vcc_lo
	v_cndmask_b32_e32 v1, v1, v3, vcc_lo
	v_cmp_le_u32_e32 vcc_lo, s18, v2
	v_add_nc_u32_e32 v3, 1, v1
	v_mov_b32_e32 v2, 0
	v_cndmask_b32_e32 v1, v1, v3, vcc_lo
.LBB11_9:
	s_or_b32 exec_lo, exec_lo, s1
.LBB11_10:
	s_or_b32 exec_lo, exec_lo, s2
	v_or_b32_e32 v5, 0x100, v0
	v_mov_b32_e32 v3, s8
	v_mov_b32_e32 v4, s9
	v_cmp_gt_u32_e64 s1, s38, v5
	s_and_saveexec_b32 s3, s1
	s_cbranch_execz .LBB11_16
; %bb.11:
	v_add_co_u32 v5, s2, s16, v5
	v_add_co_ci_u32_e64 v6, null, s17, 0, s2
	v_mov_b32_e32 v3, 0
	v_or_b32_e32 v4, s19, v6
	v_cmp_ne_u64_e32 vcc_lo, 0, v[3:4]
                                        ; implicit-def: $vgpr3_vgpr4
	s_and_saveexec_b32 s2, vcc_lo
	s_xor_b32 s22, exec_lo, s2
	s_cbranch_execz .LBB11_13
; %bb.12:
	v_cvt_f32_u32_e32 v3, s18
	v_cvt_f32_u32_e32 v4, s19
	s_sub_u32 s34, 0, s18
	s_subb_u32 s35, 0, s19
	v_fmamk_f32 v3, v4, 0x4f800000, v3
	v_rcp_f32_e32 v3, v3
	v_mul_f32_e32 v3, 0x5f7ffffc, v3
	v_mul_f32_e32 v4, 0x2f800000, v3
	v_trunc_f32_e32 v4, v4
	v_fmamk_f32 v3, v4, 0xcf800000, v3
	v_cvt_u32_f32_e32 v4, v4
	v_cvt_u32_f32_e32 v3, v3
	v_readfirstlane_b32 s2, v4
	v_readfirstlane_b32 s23, v3
	s_mul_i32 s39, s34, s2
	s_mul_hi_u32 s41, s34, s23
	s_mul_i32 s40, s35, s23
	s_add_i32 s39, s41, s39
	s_mul_i32 s42, s34, s23
	s_add_i32 s39, s39, s40
	s_mul_hi_u32 s41, s23, s42
	s_mul_i32 s44, s23, s39
	s_mul_hi_u32 s43, s2, s42
	s_mul_i32 s40, s2, s42
	s_mul_hi_u32 s42, s23, s39
	s_add_u32 s41, s41, s44
	s_addc_u32 s42, 0, s42
	s_mul_hi_u32 s45, s2, s39
	s_add_u32 s40, s41, s40
	s_mul_i32 s39, s2, s39
	s_addc_u32 s40, s42, s43
	s_addc_u32 s41, s45, 0
	s_add_u32 s39, s40, s39
	s_addc_u32 s40, 0, s41
	s_add_u32 s23, s23, s39
	s_cselect_b32 s39, -1, 0
	s_mul_hi_u32 s41, s34, s23
	s_cmp_lg_u32 s39, 0
	s_mul_i32 s39, s34, s23
	s_addc_u32 s2, s2, s40
	s_mul_i32 s35, s35, s23
	s_mul_i32 s34, s34, s2
	s_mul_hi_u32 s40, s23, s39
	s_add_i32 s34, s41, s34
	s_mul_hi_u32 s41, s2, s39
	s_add_i32 s34, s34, s35
	s_mul_i32 s35, s2, s39
	s_mul_i32 s43, s23, s34
	s_mul_hi_u32 s42, s23, s34
	s_add_u32 s40, s40, s43
	s_addc_u32 s42, 0, s42
	s_mul_hi_u32 s39, s2, s34
	s_add_u32 s35, s40, s35
	s_mul_i32 s34, s2, s34
	s_addc_u32 s35, s42, s41
	s_addc_u32 s39, s39, 0
	s_add_u32 s34, s35, s34
	s_addc_u32 s35, 0, s39
	s_add_u32 s23, s23, s34
	s_cselect_b32 s34, -1, 0
	v_mul_hi_u32 v11, v5, s23
	s_cmp_lg_u32 s34, 0
	v_mad_u64_u32 v[7:8], null, v6, s23, 0
	s_addc_u32 s2, s2, s35
	v_mad_u64_u32 v[3:4], null, v5, s2, 0
	v_mad_u64_u32 v[9:10], null, v6, s2, 0
	v_add_co_u32 v3, vcc_lo, v11, v3
	v_add_co_ci_u32_e64 v4, null, 0, v4, vcc_lo
	v_add_co_u32 v3, vcc_lo, v3, v7
	v_add_co_ci_u32_e32 v3, vcc_lo, v4, v8, vcc_lo
	v_add_co_ci_u32_e32 v4, vcc_lo, 0, v10, vcc_lo
	v_add_co_u32 v7, vcc_lo, v3, v9
	v_add_co_ci_u32_e64 v8, null, 0, v4, vcc_lo
	v_mul_lo_u32 v9, s19, v7
	v_mad_u64_u32 v[3:4], null, s18, v7, 0
	v_mul_lo_u32 v10, s18, v8
	v_sub_co_u32 v3, vcc_lo, v5, v3
	v_add3_u32 v4, v4, v10, v9
	v_sub_nc_u32_e32 v9, v6, v4
	v_sub_co_ci_u32_e64 v4, null, v6, v4, vcc_lo
	v_subrev_co_ci_u32_e64 v5, null, s19, v9, vcc_lo
	v_add_co_u32 v9, s2, v7, 2
	v_add_co_ci_u32_e64 v10, null, 0, v8, s2
	v_sub_co_u32 v11, s2, v3, s18
	v_subrev_co_ci_u32_e64 v5, null, 0, v5, s2
	v_cmp_eq_u32_e64 s2, s19, v4
	v_cmp_le_u32_e32 vcc_lo, s18, v11
	v_cndmask_b32_e64 v6, 0, -1, vcc_lo
	v_cmp_le_u32_e32 vcc_lo, s19, v5
	v_cndmask_b32_e64 v11, 0, -1, vcc_lo
	;; [unrolled: 2-line block ×4, first 2 shown]
	v_cmp_eq_u32_e32 vcc_lo, s19, v5
	v_cndmask_b32_e64 v3, v12, v3, s2
	v_cndmask_b32_e32 v5, v11, v6, vcc_lo
	v_add_co_u32 v6, vcc_lo, v7, 1
	v_add_co_ci_u32_e64 v11, null, 0, v8, vcc_lo
	v_cmp_ne_u32_e32 vcc_lo, 0, v5
	v_cndmask_b32_e32 v4, v11, v10, vcc_lo
	v_cndmask_b32_e32 v5, v6, v9, vcc_lo
	v_cmp_ne_u32_e32 vcc_lo, 0, v3
	v_cndmask_b32_e32 v4, v8, v4, vcc_lo
	v_cndmask_b32_e32 v3, v7, v5, vcc_lo
                                        ; implicit-def: $vgpr5
.LBB11_13:
	s_andn2_saveexec_b32 s2, s22
	s_cbranch_execz .LBB11_15
; %bb.14:
	v_cvt_f32_u32_e32 v3, s18
	s_sub_i32 s22, 0, s18
	v_rcp_iflag_f32_e32 v3, v3
	v_mul_f32_e32 v3, 0x4f7ffffe, v3
	v_cvt_u32_f32_e32 v3, v3
	v_mul_lo_u32 v4, s22, v3
	v_mul_hi_u32 v4, v3, v4
	v_add_nc_u32_e32 v3, v3, v4
	v_mul_hi_u32 v3, v5, v3
	v_mul_lo_u32 v4, v3, s18
	v_sub_nc_u32_e32 v4, v5, v4
	v_add_nc_u32_e32 v5, 1, v3
	v_subrev_nc_u32_e32 v6, s18, v4
	v_cmp_le_u32_e32 vcc_lo, s18, v4
	v_cndmask_b32_e32 v4, v4, v6, vcc_lo
	v_cndmask_b32_e32 v3, v3, v5, vcc_lo
	v_cmp_le_u32_e32 vcc_lo, s18, v4
	v_add_nc_u32_e32 v5, 1, v3
	v_mov_b32_e32 v4, 0
	v_cndmask_b32_e32 v3, v3, v5, vcc_lo
.LBB11_15:
	s_or_b32 exec_lo, exec_lo, s2
.LBB11_16:
	s_or_b32 exec_lo, exec_lo, s3
	v_or_b32_e32 v8, 0x200, v0
	v_mov_b32_e32 v5, s8
	v_mov_b32_e32 v6, s9
	v_cmp_gt_u32_e64 s2, s38, v8
	s_and_saveexec_b32 s22, s2
	s_cbranch_execz .LBB11_22
; %bb.17:
	v_add_co_u32 v7, s3, s16, v8
	v_add_co_ci_u32_e64 v9, null, s17, 0, s3
	v_mov_b32_e32 v5, 0
	v_or_b32_e32 v6, s19, v9
	v_cmp_ne_u64_e32 vcc_lo, 0, v[5:6]
                                        ; implicit-def: $vgpr5_vgpr6
	s_and_saveexec_b32 s3, vcc_lo
	s_xor_b32 s23, exec_lo, s3
	s_cbranch_execz .LBB11_19
; %bb.18:
	v_cvt_f32_u32_e32 v5, s18
	v_cvt_f32_u32_e32 v6, s19
	s_sub_u32 s35, 0, s18
	s_subb_u32 s39, 0, s19
	v_fmamk_f32 v5, v6, 0x4f800000, v5
	v_rcp_f32_e32 v5, v5
	v_mul_f32_e32 v5, 0x5f7ffffc, v5
	v_mul_f32_e32 v6, 0x2f800000, v5
	v_trunc_f32_e32 v6, v6
	v_fmamk_f32 v5, v6, 0xcf800000, v5
	v_cvt_u32_f32_e32 v6, v6
	v_cvt_u32_f32_e32 v5, v5
	v_readfirstlane_b32 s3, v6
	v_readfirstlane_b32 s34, v5
	s_mul_i32 s40, s35, s3
	s_mul_hi_u32 s42, s35, s34
	s_mul_i32 s41, s39, s34
	s_add_i32 s40, s42, s40
	s_mul_i32 s43, s35, s34
	s_add_i32 s40, s40, s41
	s_mul_hi_u32 s42, s34, s43
	s_mul_i32 s45, s34, s40
	s_mul_hi_u32 s44, s3, s43
	s_mul_i32 s41, s3, s43
	s_mul_hi_u32 s43, s34, s40
	s_add_u32 s42, s42, s45
	s_addc_u32 s43, 0, s43
	s_mul_hi_u32 s46, s3, s40
	s_add_u32 s41, s42, s41
	s_mul_i32 s40, s3, s40
	s_addc_u32 s41, s43, s44
	s_addc_u32 s42, s46, 0
	s_add_u32 s40, s41, s40
	s_addc_u32 s41, 0, s42
	s_add_u32 s34, s34, s40
	s_cselect_b32 s40, -1, 0
	s_mul_hi_u32 s42, s35, s34
	s_cmp_lg_u32 s40, 0
	s_mul_i32 s40, s35, s34
	s_addc_u32 s3, s3, s41
	s_mul_i32 s39, s39, s34
	s_mul_i32 s35, s35, s3
	s_mul_hi_u32 s41, s34, s40
	s_add_i32 s35, s42, s35
	s_mul_hi_u32 s42, s3, s40
	s_add_i32 s35, s35, s39
	s_mul_i32 s39, s3, s40
	s_mul_i32 s44, s34, s35
	s_mul_hi_u32 s43, s34, s35
	s_add_u32 s41, s41, s44
	s_addc_u32 s43, 0, s43
	s_mul_hi_u32 s40, s3, s35
	s_add_u32 s39, s41, s39
	s_mul_i32 s35, s3, s35
	s_addc_u32 s39, s43, s42
	s_addc_u32 s40, s40, 0
	s_add_u32 s35, s39, s35
	s_addc_u32 s39, 0, s40
	s_add_u32 s34, s34, s35
	s_cselect_b32 s35, -1, 0
	v_mul_hi_u32 v14, v7, s34
	s_cmp_lg_u32 s35, 0
	v_mad_u64_u32 v[10:11], null, v9, s34, 0
	s_addc_u32 s3, s3, s39
	v_mad_u64_u32 v[5:6], null, v7, s3, 0
	v_mad_u64_u32 v[12:13], null, v9, s3, 0
	v_add_co_u32 v5, vcc_lo, v14, v5
	v_add_co_ci_u32_e64 v6, null, 0, v6, vcc_lo
	v_add_co_u32 v5, vcc_lo, v5, v10
	v_add_co_ci_u32_e32 v5, vcc_lo, v6, v11, vcc_lo
	v_add_co_ci_u32_e32 v6, vcc_lo, 0, v13, vcc_lo
	v_add_co_u32 v10, vcc_lo, v5, v12
	v_add_co_ci_u32_e64 v11, null, 0, v6, vcc_lo
	v_mul_lo_u32 v12, s19, v10
	v_mad_u64_u32 v[5:6], null, s18, v10, 0
	v_mul_lo_u32 v13, s18, v11
	v_sub_co_u32 v5, vcc_lo, v7, v5
	v_add3_u32 v6, v6, v13, v12
	v_sub_nc_u32_e32 v12, v9, v6
	v_sub_co_ci_u32_e64 v6, null, v9, v6, vcc_lo
	v_subrev_co_ci_u32_e64 v7, null, s19, v12, vcc_lo
	v_add_co_u32 v12, s3, v10, 2
	v_add_co_ci_u32_e64 v13, null, 0, v11, s3
	v_sub_co_u32 v14, s3, v5, s18
	v_subrev_co_ci_u32_e64 v7, null, 0, v7, s3
	v_cmp_eq_u32_e64 s3, s19, v6
	v_cmp_le_u32_e32 vcc_lo, s18, v14
	v_cndmask_b32_e64 v9, 0, -1, vcc_lo
	v_cmp_le_u32_e32 vcc_lo, s19, v7
	v_cndmask_b32_e64 v14, 0, -1, vcc_lo
	;; [unrolled: 2-line block ×4, first 2 shown]
	v_cmp_eq_u32_e32 vcc_lo, s19, v7
	v_cndmask_b32_e64 v5, v15, v5, s3
	v_cndmask_b32_e32 v7, v14, v9, vcc_lo
	v_add_co_u32 v9, vcc_lo, v10, 1
	v_add_co_ci_u32_e64 v14, null, 0, v11, vcc_lo
	v_cmp_ne_u32_e32 vcc_lo, 0, v7
	v_cndmask_b32_e32 v6, v14, v13, vcc_lo
	v_cndmask_b32_e32 v7, v9, v12, vcc_lo
	v_cmp_ne_u32_e32 vcc_lo, 0, v5
	v_cndmask_b32_e32 v6, v11, v6, vcc_lo
	v_cndmask_b32_e32 v5, v10, v7, vcc_lo
                                        ; implicit-def: $vgpr7
.LBB11_19:
	s_andn2_saveexec_b32 s3, s23
	s_cbranch_execz .LBB11_21
; %bb.20:
	v_cvt_f32_u32_e32 v5, s18
	s_sub_i32 s23, 0, s18
	v_rcp_iflag_f32_e32 v5, v5
	v_mul_f32_e32 v5, 0x4f7ffffe, v5
	v_cvt_u32_f32_e32 v5, v5
	v_mul_lo_u32 v6, s23, v5
	v_mul_hi_u32 v6, v5, v6
	v_add_nc_u32_e32 v5, v5, v6
	v_mul_hi_u32 v5, v7, v5
	v_mul_lo_u32 v6, v5, s18
	v_sub_nc_u32_e32 v6, v7, v6
	v_add_nc_u32_e32 v7, 1, v5
	v_subrev_nc_u32_e32 v9, s18, v6
	v_cmp_le_u32_e32 vcc_lo, s18, v6
	v_cndmask_b32_e32 v6, v6, v9, vcc_lo
	v_cndmask_b32_e32 v5, v5, v7, vcc_lo
	v_cmp_le_u32_e32 vcc_lo, s18, v6
	v_add_nc_u32_e32 v7, 1, v5
	v_mov_b32_e32 v6, 0
	v_cndmask_b32_e32 v5, v5, v7, vcc_lo
.LBB11_21:
	s_or_b32 exec_lo, exec_lo, s3
.LBB11_22:
	s_or_b32 exec_lo, exec_lo, s22
	v_lshlrev_b32_e32 v17, 3, v0
	v_lshlrev_b32_e32 v7, 4, v0
	s_cmp_eq_u64 s[20:21], 0
	ds_write2st64_b64 v17, v[1:2], v[3:4] offset1:4
	v_add_nc_u32_e32 v9, v17, v7
	ds_write_b64 v17, v[5:6] offset:4096
	s_waitcnt lgkmcnt(0)
	s_barrier
	buffer_gl0_inv
	ds_read2_b64 v[1:4], v9 offset1:1
	ds_read_b64 v[13:14], v9 offset:16
	s_cbranch_scc1 .LBB11_31
; %bb.23:
	s_andn2_b32 vcc_lo, exec_lo, s37
	s_cbranch_vccnz .LBB11_27
; %bb.24:
	s_lshl_b64 s[8:9], s[20:21], 3
	s_add_u32 s3, s14, s8
	s_addc_u32 s9, s15, s9
	s_add_u32 s8, s3, -8
	s_addc_u32 s9, s9, -1
	s_load_dwordx2 s[8:9], s[8:9], 0x0
	s_cbranch_execz .LBB11_28
	s_branch .LBB11_31
.LBB11_25:
                                        ; implicit-def: $sgpr2
                                        ; implicit-def: $vgpr7
                                        ; implicit-def: $vgpr9_vgpr10
                                        ; implicit-def: $vgpr11_vgpr12
	s_cbranch_execnz .LBB11_42
	s_branch .LBB11_71
.LBB11_26:
                                        ; implicit-def: $sgpr8_sgpr9
	s_branch .LBB11_3
.LBB11_27:
                                        ; implicit-def: $sgpr8_sgpr9
.LBB11_28:
	s_add_u32 s22, s16, -1
	s_addc_u32 s23, s17, -1
	s_or_b64 s[34:35], s[22:23], s[18:19]
	s_mov_b32 s34, 0
	s_cmp_lg_u64 s[34:35], 0
	s_cbranch_scc0 .LBB11_142
; %bb.29:
	v_cvt_f32_u32_e32 v5, s18
	v_cvt_f32_u32_e32 v6, s19
	s_waitcnt lgkmcnt(0)
	s_sub_u32 s9, 0, s18
	s_subb_u32 s35, 0, s19
	v_fmamk_f32 v5, v6, 0x4f800000, v5
	v_rcp_f32_e32 v5, v5
	v_mul_f32_e32 v5, 0x5f7ffffc, v5
	v_mul_f32_e32 v6, 0x2f800000, v5
	v_trunc_f32_e32 v6, v6
	v_fmamk_f32 v5, v6, 0xcf800000, v5
	v_cvt_u32_f32_e32 v6, v6
	v_cvt_u32_f32_e32 v5, v5
	v_readfirstlane_b32 s3, v6
	v_readfirstlane_b32 s8, v5
	s_mul_i32 s39, s9, s3
	s_mul_hi_u32 s41, s9, s8
	s_mul_i32 s40, s35, s8
	s_add_i32 s39, s41, s39
	s_mul_i32 s42, s9, s8
	s_add_i32 s39, s39, s40
	s_mul_hi_u32 s41, s8, s42
	s_mul_i32 s44, s8, s39
	s_mul_hi_u32 s43, s3, s42
	s_mul_i32 s40, s3, s42
	s_mul_hi_u32 s42, s8, s39
	s_add_u32 s41, s41, s44
	s_addc_u32 s42, 0, s42
	s_mul_hi_u32 s45, s3, s39
	s_add_u32 s40, s41, s40
	s_mul_i32 s39, s3, s39
	s_addc_u32 s40, s42, s43
	s_addc_u32 s41, s45, 0
	s_add_u32 s39, s40, s39
	s_addc_u32 s40, 0, s41
	s_add_u32 s8, s8, s39
	s_cselect_b32 s39, -1, 0
	s_mul_hi_u32 s41, s9, s8
	s_cmp_lg_u32 s39, 0
	s_mul_i32 s39, s9, s8
	s_addc_u32 s3, s3, s40
	s_mul_i32 s35, s35, s8
	s_mul_i32 s9, s9, s3
	s_mul_hi_u32 s40, s8, s39
	s_add_i32 s9, s41, s9
	s_mul_hi_u32 s41, s3, s39
	s_add_i32 s9, s9, s35
	s_mul_i32 s35, s3, s39
	s_mul_i32 s43, s8, s9
	s_mul_hi_u32 s42, s8, s9
	s_add_u32 s40, s40, s43
	s_addc_u32 s42, 0, s42
	s_mul_hi_u32 s39, s3, s9
	s_add_u32 s35, s40, s35
	s_mul_i32 s9, s3, s9
	s_addc_u32 s35, s42, s41
	s_addc_u32 s39, s39, 0
	s_add_u32 s9, s35, s9
	s_addc_u32 s35, 0, s39
	s_add_u32 s8, s8, s9
	s_cselect_b32 s9, -1, 0
	s_mul_hi_u32 s39, s22, s8
	s_cmp_lg_u32 s9, 0
	s_mul_hi_u32 s9, s23, s8
	s_addc_u32 s3, s3, s35
	s_mul_i32 s8, s23, s8
	s_mul_i32 s40, s22, s3
	s_mul_hi_u32 s35, s22, s3
	s_add_u32 s39, s39, s40
	s_addc_u32 s35, 0, s35
	s_mul_hi_u32 s41, s23, s3
	s_add_u32 s8, s39, s8
	s_mul_i32 s3, s23, s3
	s_addc_u32 s8, s35, s9
	s_addc_u32 s9, s41, 0
	s_add_u32 s3, s8, s3
	s_addc_u32 s8, 0, s9
	s_mul_hi_u32 s9, s18, s3
	s_mul_i32 s35, s18, s8
	s_mul_i32 s39, s19, s3
	s_add_i32 s9, s9, s35
	s_mul_i32 s35, s18, s3
	s_add_i32 s9, s9, s39
	s_sub_i32 s39, s23, s9
	s_sub_u32 s35, s22, s35
	s_cselect_b32 s40, -1, 0
	s_cmp_lg_u32 s40, 0
	s_subb_u32 s39, s39, s19
	s_sub_u32 s41, s35, s18
	s_cselect_b32 s42, -1, 0
	s_cmp_lg_u32 s42, 0
	s_subb_u32 s39, s39, 0
	s_cmp_ge_u32 s39, s19
	s_cselect_b32 s42, -1, 0
	s_cmp_ge_u32 s41, s18
	s_cselect_b32 s41, -1, 0
	s_cmp_eq_u32 s39, s19
	s_cselect_b32 s39, s41, s42
	s_add_u32 s41, s3, 1
	s_addc_u32 s42, s8, 0
	s_add_u32 s43, s3, 2
	s_addc_u32 s44, s8, 0
	s_cmp_lg_u32 s39, 0
	s_cselect_b32 s39, s43, s41
	s_cselect_b32 s41, s44, s42
	s_cmp_lg_u32 s40, 0
	s_subb_u32 s9, s23, s9
	s_cmp_ge_u32 s9, s19
	s_cselect_b32 s23, -1, 0
	s_cmp_ge_u32 s35, s18
	s_cselect_b32 s35, -1, 0
	s_cmp_eq_u32 s9, s19
	s_cselect_b32 s9, s35, s23
	s_cmp_lg_u32 s9, 0
	s_cselect_b32 s9, s41, s8
	s_cselect_b32 s8, s39, s3
	s_andn2_b32 vcc_lo, exec_lo, s34
	s_cbranch_vccnz .LBB11_31
.LBB11_30:
	v_cvt_f32_u32_e32 v5, s18
	s_waitcnt lgkmcnt(0)
	s_sub_i32 s8, 0, s18
	v_rcp_iflag_f32_e32 v5, v5
	v_mul_f32_e32 v5, 0x4f7ffffe, v5
	v_cvt_u32_f32_e32 v5, v5
	v_readfirstlane_b32 s3, v5
	s_mul_i32 s8, s8, s3
	s_mul_hi_u32 s8, s3, s8
	s_add_i32 s3, s3, s8
	s_mul_hi_u32 s3, s22, s3
	s_mul_i32 s8, s3, s18
	s_add_i32 s9, s3, 1
	s_sub_i32 s8, s22, s8
	s_sub_i32 s22, s8, s18
	s_cmp_ge_u32 s8, s18
	s_cselect_b32 s3, s9, s3
	s_cselect_b32 s8, s22, s8
	s_add_i32 s22, s3, 1
	s_cmp_ge_u32 s8, s18
	s_mov_b32 s9, 0
	s_cselect_b32 s8, s22, s3
.LBB11_31:
	s_waitcnt lgkmcnt(0)
	v_mov_b32_e32 v16, s9
	v_sub_nc_u32_e32 v9, v9, v7
	v_mov_b32_e32 v15, s8
	s_mov_b32 s3, exec_lo
	ds_write_b64 v9, v[13:14] offset:6144
	s_waitcnt lgkmcnt(0)
	s_barrier
	buffer_gl0_inv
	v_cmpx_ne_u32_e32 0, v0
; %bb.32:
	ds_read_b64 v[15:16], v9 offset:6136
; %bb.33:
	s_or_b32 exec_lo, exec_lo, s3
	v_mov_b32_e32 v5, 0
	s_waitcnt lgkmcnt(0)
	s_barrier
	buffer_gl0_inv
	v_mov_b32_e32 v6, v5
	v_mov_b32_e32 v7, v5
	s_and_saveexec_b32 s3, s0
	s_cbranch_execnz .LBB11_57
; %bb.34:
	s_or_b32 exec_lo, exec_lo, s3
	s_and_saveexec_b32 s0, s1
	s_cbranch_execnz .LBB11_58
.LBB11_35:
	s_or_b32 exec_lo, exec_lo, s0
	s_and_saveexec_b32 s0, s2
	s_cbranch_execz .LBB11_37
.LBB11_36:
	v_lshlrev_b32_e32 v7, 2, v8
	v_add_co_u32 v7, s1, s33, v7
	v_add_co_ci_u32_e64 v8, null, s36, 0, s1
	flat_load_dword v7, v[7:8]
.LBB11_37:
	s_or_b32 exec_lo, exec_lo, s0
	v_lshlrev_b32_e32 v10, 2, v0
	v_mov_b32_e32 v11, 0
	v_mul_u32_u24_e32 v8, 3, v0
	v_mov_b32_e32 v12, 0
	s_mov_b32 s3, 0
	v_sub_nc_u32_e32 v18, v9, v10
	v_mov_b32_e32 v9, 0
	v_mov_b32_e32 v10, 0
	s_mov_b32 s1, 0
	s_mov_b32 s8, exec_lo
	s_waitcnt vmcnt(0) lgkmcnt(0)
	ds_write2st64_b32 v18, v5, v6 offset1:4
	ds_write_b32 v18, v7 offset:2048
	s_waitcnt lgkmcnt(0)
	s_barrier
	buffer_gl0_inv
                                        ; implicit-def: $sgpr2
                                        ; implicit-def: $vgpr7
	v_cmpx_gt_u32_e64 s38, v8
	s_cbranch_execz .LBB11_41
; %bb.38:
	v_add_nc_u32_e32 v5, v18, v17
	v_cmp_ne_u64_e32 vcc_lo, v[15:16], v[1:2]
	v_mov_b32_e32 v11, 0
	v_add_nc_u32_e32 v6, 1, v8
	v_mov_b32_e32 v12, 0
	ds_read_b32 v9, v5
	s_mov_b32 s0, 0
	v_cndmask_b32_e64 v10, 0, 1, vcc_lo
	s_mov_b32 s1, exec_lo
                                        ; implicit-def: $sgpr2
                                        ; implicit-def: $vgpr7
	v_cmpx_gt_u32_e64 s38, v6
	s_xor_b32 s1, exec_lo, s1
	s_cbranch_execz .LBB11_40
; %bb.39:
	ds_read2_b32 v[6:7], v5 offset0:1 offset1:2
	v_add_nc_u32_e32 v5, 2, v8
	v_cmp_ne_u64_e64 s0, v[1:2], v[3:4]
	v_cmp_ne_u64_e64 s2, v[3:4], v[13:14]
	v_cmp_gt_u32_e32 vcc_lo, s38, v5
	v_cndmask_b32_e64 v12, 0, 1, s0
	s_and_b32 s0, vcc_lo, exec_lo
	s_waitcnt lgkmcnt(0)
	v_mov_b32_e32 v11, v6
.LBB11_40:
	s_or_b32 exec_lo, exec_lo, s1
	s_and_b32 s1, s0, exec_lo
.LBB11_41:
	s_or_b32 exec_lo, exec_lo, s8
	s_and_b32 vcc_lo, exec_lo, s3
	s_cbranch_vccz .LBB11_71
.LBB11_42:
	v_add_co_u32 v5, s0, s16, v0
	v_add_co_ci_u32_e64 v6, null, s17, 0, s0
	v_mov_b32_e32 v1, 0
	v_or_b32_e32 v2, s19, v6
	v_cmp_ne_u64_e32 vcc_lo, 0, v[1:2]
                                        ; implicit-def: $vgpr1_vgpr2
	s_and_saveexec_b32 s0, vcc_lo
	s_xor_b32 s1, exec_lo, s0
	s_cbranch_execz .LBB11_44
; %bb.43:
	v_cvt_f32_u32_e32 v1, s18
	v_cvt_f32_u32_e32 v2, s19
	s_sub_u32 s3, 0, s18
	s_subb_u32 s8, 0, s19
	v_fmamk_f32 v1, v2, 0x4f800000, v1
	v_rcp_f32_e32 v1, v1
	v_mul_f32_e32 v1, 0x5f7ffffc, v1
	v_mul_f32_e32 v2, 0x2f800000, v1
	v_trunc_f32_e32 v2, v2
	v_fmamk_f32 v1, v2, 0xcf800000, v1
	v_cvt_u32_f32_e32 v2, v2
	v_cvt_u32_f32_e32 v1, v1
	v_readfirstlane_b32 s0, v2
	v_readfirstlane_b32 s2, v1
	s_mul_i32 s9, s3, s0
	s_mul_hi_u32 s23, s3, s2
	s_mul_i32 s22, s8, s2
	s_add_i32 s9, s23, s9
	s_mul_i32 s34, s3, s2
	s_add_i32 s9, s9, s22
	s_mul_hi_u32 s23, s2, s34
	s_mul_i32 s38, s2, s9
	s_mul_hi_u32 s35, s0, s34
	s_mul_i32 s22, s0, s34
	s_mul_hi_u32 s34, s2, s9
	s_add_u32 s23, s23, s38
	s_addc_u32 s34, 0, s34
	s_mul_hi_u32 s39, s0, s9
	s_add_u32 s22, s23, s22
	s_mul_i32 s9, s0, s9
	s_addc_u32 s22, s34, s35
	s_addc_u32 s23, s39, 0
	s_add_u32 s9, s22, s9
	s_addc_u32 s22, 0, s23
	s_add_u32 s2, s2, s9
	s_cselect_b32 s9, -1, 0
	s_mul_hi_u32 s23, s3, s2
	s_cmp_lg_u32 s9, 0
	s_mul_i32 s9, s3, s2
	s_addc_u32 s0, s0, s22
	s_mul_i32 s8, s8, s2
	s_mul_i32 s3, s3, s0
	s_mul_hi_u32 s22, s2, s9
	s_add_i32 s3, s23, s3
	s_mul_hi_u32 s23, s0, s9
	s_add_i32 s3, s3, s8
	s_mul_i32 s8, s0, s9
	s_mul_i32 s35, s2, s3
	s_mul_hi_u32 s34, s2, s3
	s_add_u32 s22, s22, s35
	s_addc_u32 s34, 0, s34
	s_mul_hi_u32 s9, s0, s3
	s_add_u32 s8, s22, s8
	s_mul_i32 s3, s0, s3
	s_addc_u32 s8, s34, s23
	s_addc_u32 s9, s9, 0
	s_add_u32 s3, s8, s3
	s_addc_u32 s8, 0, s9
	s_add_u32 s2, s2, s3
	s_cselect_b32 s3, -1, 0
	s_waitcnt lgkmcnt(0)
	v_mul_hi_u32 v9, v5, s2
	s_cmp_lg_u32 s3, 0
	v_mad_u64_u32 v[3:4], null, v6, s2, 0
	s_addc_u32 s0, s0, s8
	v_mad_u64_u32 v[1:2], null, v5, s0, 0
	v_mad_u64_u32 v[7:8], null, v6, s0, 0
	v_add_co_u32 v1, vcc_lo, v9, v1
	v_add_co_ci_u32_e64 v2, null, 0, v2, vcc_lo
	v_add_co_u32 v1, vcc_lo, v1, v3
	v_add_co_ci_u32_e32 v1, vcc_lo, v2, v4, vcc_lo
	v_add_co_ci_u32_e32 v2, vcc_lo, 0, v8, vcc_lo
	v_add_co_u32 v3, vcc_lo, v1, v7
	v_add_co_ci_u32_e64 v4, null, 0, v2, vcc_lo
	v_mul_lo_u32 v7, s19, v3
	v_mad_u64_u32 v[1:2], null, s18, v3, 0
	v_mul_lo_u32 v8, s18, v4
	v_sub_co_u32 v1, vcc_lo, v5, v1
	v_add3_u32 v2, v2, v8, v7
	v_add_co_u32 v8, s0, v3, 2
	v_add_co_ci_u32_e64 v9, null, 0, v4, s0
	v_sub_nc_u32_e32 v7, v6, v2
	v_sub_co_u32 v10, s0, v1, s18
	v_sub_co_ci_u32_e64 v2, null, v6, v2, vcc_lo
	v_subrev_co_ci_u32_e64 v7, null, s19, v7, vcc_lo
	v_cmp_le_u32_e32 vcc_lo, s18, v10
	v_subrev_co_ci_u32_e64 v7, null, 0, v7, s0
	v_cndmask_b32_e64 v10, 0, -1, vcc_lo
	v_cmp_eq_u32_e64 s0, s19, v2
	v_cmp_le_u32_e32 vcc_lo, s19, v7
	v_cndmask_b32_e64 v11, 0, -1, vcc_lo
	v_cmp_le_u32_e32 vcc_lo, s18, v1
	v_cndmask_b32_e64 v1, 0, -1, vcc_lo
	;; [unrolled: 2-line block ×3, first 2 shown]
	v_cmp_eq_u32_e32 vcc_lo, s19, v7
	v_cndmask_b32_e64 v1, v12, v1, s0
	v_cndmask_b32_e32 v7, v11, v10, vcc_lo
	v_add_co_u32 v10, vcc_lo, v3, 1
	v_add_co_ci_u32_e64 v11, null, 0, v4, vcc_lo
	v_cmp_ne_u32_e32 vcc_lo, 0, v7
	v_cndmask_b32_e32 v2, v11, v9, vcc_lo
	v_cndmask_b32_e32 v7, v10, v8, vcc_lo
	v_cmp_ne_u32_e32 vcc_lo, 0, v1
	v_cndmask_b32_e32 v2, v4, v2, vcc_lo
	v_cndmask_b32_e32 v1, v3, v7, vcc_lo
.LBB11_44:
	s_andn2_saveexec_b32 s0, s1
	s_cbranch_execz .LBB11_46
; %bb.45:
	v_cvt_f32_u32_e32 v1, s18
	s_sub_i32 s1, 0, s18
	v_rcp_iflag_f32_e32 v1, v1
	v_mul_f32_e32 v1, 0x4f7ffffe, v1
	v_cvt_u32_f32_e32 v1, v1
	v_mul_lo_u32 v2, s1, v1
	v_mul_hi_u32 v2, v1, v2
	v_add_nc_u32_e32 v1, v1, v2
	v_mul_hi_u32 v1, v5, v1
	v_mul_lo_u32 v2, v1, s18
	v_add_nc_u32_e32 v3, 1, v1
	v_sub_nc_u32_e32 v2, v5, v2
	v_subrev_nc_u32_e32 v4, s18, v2
	v_cmp_le_u32_e32 vcc_lo, s18, v2
	v_cndmask_b32_e32 v2, v2, v4, vcc_lo
	v_cndmask_b32_e32 v1, v1, v3, vcc_lo
	v_cmp_le_u32_e32 vcc_lo, s18, v2
	v_add_nc_u32_e32 v3, 1, v1
	v_mov_b32_e32 v2, 0
	v_cndmask_b32_e32 v1, v1, v3, vcc_lo
.LBB11_46:
	s_or_b32 exec_lo, exec_lo, s0
	v_add_co_u32 v7, vcc_lo, 0x100, v5
	v_add_co_ci_u32_e64 v8, null, 0, v6, vcc_lo
	v_mov_b32_e32 v3, 0
	v_or_b32_e32 v4, s19, v8
	v_cmp_ne_u64_e32 vcc_lo, 0, v[3:4]
                                        ; implicit-def: $vgpr3_vgpr4
	s_and_saveexec_b32 s0, vcc_lo
	s_xor_b32 s1, exec_lo, s0
	s_cbranch_execz .LBB11_48
; %bb.47:
	v_cvt_f32_u32_e32 v3, s18
	v_cvt_f32_u32_e32 v4, s19
	s_sub_u32 s3, 0, s18
	s_subb_u32 s8, 0, s19
	v_fmamk_f32 v3, v4, 0x4f800000, v3
	v_rcp_f32_e32 v3, v3
	v_mul_f32_e32 v3, 0x5f7ffffc, v3
	v_mul_f32_e32 v4, 0x2f800000, v3
	v_trunc_f32_e32 v4, v4
	v_fmamk_f32 v3, v4, 0xcf800000, v3
	v_cvt_u32_f32_e32 v4, v4
	v_cvt_u32_f32_e32 v3, v3
	v_readfirstlane_b32 s0, v4
	v_readfirstlane_b32 s2, v3
	s_mul_i32 s9, s3, s0
	s_mul_hi_u32 s23, s3, s2
	s_mul_i32 s22, s8, s2
	s_add_i32 s9, s23, s9
	s_mul_i32 s34, s3, s2
	s_add_i32 s9, s9, s22
	s_mul_hi_u32 s23, s2, s34
	s_mul_i32 s38, s2, s9
	s_mul_hi_u32 s35, s0, s34
	s_mul_i32 s22, s0, s34
	s_mul_hi_u32 s34, s2, s9
	s_add_u32 s23, s23, s38
	s_addc_u32 s34, 0, s34
	s_mul_hi_u32 s39, s0, s9
	s_add_u32 s22, s23, s22
	s_mul_i32 s9, s0, s9
	s_addc_u32 s22, s34, s35
	s_addc_u32 s23, s39, 0
	s_add_u32 s9, s22, s9
	s_addc_u32 s22, 0, s23
	s_add_u32 s2, s2, s9
	s_cselect_b32 s9, -1, 0
	s_mul_hi_u32 s23, s3, s2
	s_cmp_lg_u32 s9, 0
	s_mul_i32 s9, s3, s2
	s_addc_u32 s0, s0, s22
	s_mul_i32 s8, s8, s2
	s_mul_i32 s3, s3, s0
	s_mul_hi_u32 s22, s2, s9
	s_add_i32 s3, s23, s3
	s_mul_hi_u32 s23, s0, s9
	s_add_i32 s3, s3, s8
	s_mul_i32 s8, s0, s9
	s_mul_i32 s35, s2, s3
	s_mul_hi_u32 s34, s2, s3
	s_add_u32 s22, s22, s35
	s_addc_u32 s34, 0, s34
	s_mul_hi_u32 s9, s0, s3
	s_add_u32 s8, s22, s8
	s_mul_i32 s3, s0, s3
	s_addc_u32 s8, s34, s23
	s_addc_u32 s9, s9, 0
	s_add_u32 s3, s8, s3
	s_addc_u32 s8, 0, s9
	s_add_u32 s2, s2, s3
	s_cselect_b32 s3, -1, 0
	v_mul_hi_u32 v13, v7, s2
	s_cmp_lg_u32 s3, 0
	s_waitcnt lgkmcnt(0)
	v_mad_u64_u32 v[9:10], null, v8, s2, 0
	s_addc_u32 s0, s0, s8
	v_mad_u64_u32 v[3:4], null, v7, s0, 0
	v_mad_u64_u32 v[11:12], null, v8, s0, 0
	v_add_co_u32 v3, vcc_lo, v13, v3
	v_add_co_ci_u32_e64 v4, null, 0, v4, vcc_lo
	v_add_co_u32 v3, vcc_lo, v3, v9
	v_add_co_ci_u32_e32 v3, vcc_lo, v4, v10, vcc_lo
	v_add_co_ci_u32_e32 v4, vcc_lo, 0, v12, vcc_lo
	v_add_co_u32 v9, vcc_lo, v3, v11
	v_add_co_ci_u32_e64 v10, null, 0, v4, vcc_lo
	v_mul_lo_u32 v11, s19, v9
	v_mad_u64_u32 v[3:4], null, s18, v9, 0
	v_mul_lo_u32 v12, s18, v10
	v_sub_co_u32 v3, vcc_lo, v7, v3
	v_add3_u32 v4, v4, v12, v11
	v_sub_nc_u32_e32 v11, v8, v4
	v_sub_co_ci_u32_e64 v4, null, v8, v4, vcc_lo
	v_subrev_co_ci_u32_e64 v7, null, s19, v11, vcc_lo
	v_add_co_u32 v11, s0, v9, 2
	v_add_co_ci_u32_e64 v12, null, 0, v10, s0
	v_sub_co_u32 v13, s0, v3, s18
	v_subrev_co_ci_u32_e64 v7, null, 0, v7, s0
	v_cmp_eq_u32_e64 s0, s19, v4
	v_cmp_le_u32_e32 vcc_lo, s18, v13
	v_cndmask_b32_e64 v8, 0, -1, vcc_lo
	v_cmp_le_u32_e32 vcc_lo, s19, v7
	v_cndmask_b32_e64 v13, 0, -1, vcc_lo
	;; [unrolled: 2-line block ×4, first 2 shown]
	v_cmp_eq_u32_e32 vcc_lo, s19, v7
	v_cndmask_b32_e64 v3, v14, v3, s0
	v_cndmask_b32_e32 v7, v13, v8, vcc_lo
	v_add_co_u32 v8, vcc_lo, v9, 1
	v_add_co_ci_u32_e64 v13, null, 0, v10, vcc_lo
	v_cmp_ne_u32_e32 vcc_lo, 0, v7
	v_cndmask_b32_e32 v4, v13, v12, vcc_lo
	v_cndmask_b32_e32 v7, v8, v11, vcc_lo
	v_cmp_ne_u32_e32 vcc_lo, 0, v3
	v_cndmask_b32_e32 v4, v10, v4, vcc_lo
	v_cndmask_b32_e32 v3, v9, v7, vcc_lo
                                        ; implicit-def: $vgpr7
.LBB11_48:
	s_andn2_saveexec_b32 s0, s1
	s_cbranch_execz .LBB11_50
; %bb.49:
	v_cvt_f32_u32_e32 v3, s18
	s_sub_i32 s1, 0, s18
	v_rcp_iflag_f32_e32 v3, v3
	v_mul_f32_e32 v3, 0x4f7ffffe, v3
	v_cvt_u32_f32_e32 v3, v3
	v_mul_lo_u32 v4, s1, v3
	v_mul_hi_u32 v4, v3, v4
	v_add_nc_u32_e32 v3, v3, v4
	v_mul_hi_u32 v3, v7, v3
	v_mul_lo_u32 v4, v3, s18
	v_sub_nc_u32_e32 v4, v7, v4
	v_add_nc_u32_e32 v7, 1, v3
	v_subrev_nc_u32_e32 v8, s18, v4
	v_cmp_le_u32_e32 vcc_lo, s18, v4
	v_cndmask_b32_e32 v4, v4, v8, vcc_lo
	v_cndmask_b32_e32 v3, v3, v7, vcc_lo
	v_cmp_le_u32_e32 vcc_lo, s18, v4
	v_add_nc_u32_e32 v7, 1, v3
	v_mov_b32_e32 v4, 0
	v_cndmask_b32_e32 v3, v3, v7, vcc_lo
.LBB11_50:
	s_or_b32 exec_lo, exec_lo, s0
	v_add_co_u32 v7, vcc_lo, 0x200, v5
	v_add_co_ci_u32_e64 v8, null, 0, v6, vcc_lo
	v_mov_b32_e32 v5, 0
	v_or_b32_e32 v6, s19, v8
	v_cmp_ne_u64_e32 vcc_lo, 0, v[5:6]
                                        ; implicit-def: $vgpr5_vgpr6
	s_and_saveexec_b32 s0, vcc_lo
	s_xor_b32 s1, exec_lo, s0
	s_cbranch_execz .LBB11_52
; %bb.51:
	v_cvt_f32_u32_e32 v5, s18
	v_cvt_f32_u32_e32 v6, s19
	s_sub_u32 s3, 0, s18
	s_subb_u32 s8, 0, s19
	v_fmamk_f32 v5, v6, 0x4f800000, v5
	v_rcp_f32_e32 v5, v5
	v_mul_f32_e32 v5, 0x5f7ffffc, v5
	v_mul_f32_e32 v6, 0x2f800000, v5
	v_trunc_f32_e32 v6, v6
	v_fmamk_f32 v5, v6, 0xcf800000, v5
	v_cvt_u32_f32_e32 v6, v6
	v_cvt_u32_f32_e32 v5, v5
	v_readfirstlane_b32 s0, v6
	v_readfirstlane_b32 s2, v5
	s_mul_i32 s9, s3, s0
	s_mul_hi_u32 s23, s3, s2
	s_mul_i32 s22, s8, s2
	s_add_i32 s9, s23, s9
	s_mul_i32 s34, s3, s2
	s_add_i32 s9, s9, s22
	s_mul_hi_u32 s23, s2, s34
	s_mul_i32 s38, s2, s9
	s_mul_hi_u32 s35, s0, s34
	s_mul_i32 s22, s0, s34
	s_mul_hi_u32 s34, s2, s9
	s_add_u32 s23, s23, s38
	s_addc_u32 s34, 0, s34
	s_mul_hi_u32 s39, s0, s9
	s_add_u32 s22, s23, s22
	s_mul_i32 s9, s0, s9
	s_addc_u32 s22, s34, s35
	s_addc_u32 s23, s39, 0
	s_add_u32 s9, s22, s9
	s_addc_u32 s22, 0, s23
	s_add_u32 s2, s2, s9
	s_cselect_b32 s9, -1, 0
	s_mul_hi_u32 s23, s3, s2
	s_cmp_lg_u32 s9, 0
	s_mul_i32 s9, s3, s2
	s_addc_u32 s0, s0, s22
	s_mul_i32 s8, s8, s2
	s_mul_i32 s3, s3, s0
	s_mul_hi_u32 s22, s2, s9
	s_add_i32 s3, s23, s3
	s_mul_hi_u32 s23, s0, s9
	s_add_i32 s3, s3, s8
	s_mul_i32 s8, s0, s9
	s_mul_i32 s35, s2, s3
	s_mul_hi_u32 s34, s2, s3
	s_add_u32 s22, s22, s35
	s_addc_u32 s34, 0, s34
	s_mul_hi_u32 s9, s0, s3
	s_add_u32 s8, s22, s8
	s_mul_i32 s3, s0, s3
	s_addc_u32 s8, s34, s23
	s_addc_u32 s9, s9, 0
	s_add_u32 s3, s8, s3
	s_addc_u32 s8, 0, s9
	s_add_u32 s2, s2, s3
	s_cselect_b32 s3, -1, 0
	v_mul_hi_u32 v13, v7, s2
	s_cmp_lg_u32 s3, 0
	s_waitcnt lgkmcnt(0)
	v_mad_u64_u32 v[9:10], null, v8, s2, 0
	s_addc_u32 s0, s0, s8
	v_mad_u64_u32 v[5:6], null, v7, s0, 0
	v_mad_u64_u32 v[11:12], null, v8, s0, 0
	v_add_co_u32 v5, vcc_lo, v13, v5
	v_add_co_ci_u32_e64 v6, null, 0, v6, vcc_lo
	v_add_co_u32 v5, vcc_lo, v5, v9
	v_add_co_ci_u32_e32 v5, vcc_lo, v6, v10, vcc_lo
	v_add_co_ci_u32_e32 v6, vcc_lo, 0, v12, vcc_lo
	v_add_co_u32 v9, vcc_lo, v5, v11
	v_add_co_ci_u32_e64 v10, null, 0, v6, vcc_lo
	v_mul_lo_u32 v11, s19, v9
	v_mad_u64_u32 v[5:6], null, s18, v9, 0
	v_mul_lo_u32 v12, s18, v10
	v_sub_co_u32 v5, vcc_lo, v7, v5
	v_add3_u32 v6, v6, v12, v11
	v_sub_nc_u32_e32 v11, v8, v6
	v_sub_co_ci_u32_e64 v6, null, v8, v6, vcc_lo
	v_subrev_co_ci_u32_e64 v7, null, s19, v11, vcc_lo
	v_add_co_u32 v11, s0, v9, 2
	v_add_co_ci_u32_e64 v12, null, 0, v10, s0
	v_sub_co_u32 v13, s0, v5, s18
	v_subrev_co_ci_u32_e64 v7, null, 0, v7, s0
	v_cmp_eq_u32_e64 s0, s19, v6
	v_cmp_le_u32_e32 vcc_lo, s18, v13
	v_cndmask_b32_e64 v8, 0, -1, vcc_lo
	v_cmp_le_u32_e32 vcc_lo, s19, v7
	v_cndmask_b32_e64 v13, 0, -1, vcc_lo
	;; [unrolled: 2-line block ×4, first 2 shown]
	v_cmp_eq_u32_e32 vcc_lo, s19, v7
	v_cndmask_b32_e64 v5, v14, v5, s0
	v_cndmask_b32_e32 v7, v13, v8, vcc_lo
	v_add_co_u32 v8, vcc_lo, v9, 1
	v_add_co_ci_u32_e64 v13, null, 0, v10, vcc_lo
	v_cmp_ne_u32_e32 vcc_lo, 0, v7
	v_cndmask_b32_e32 v6, v13, v12, vcc_lo
	v_cndmask_b32_e32 v7, v8, v11, vcc_lo
	v_cmp_ne_u32_e32 vcc_lo, 0, v5
	v_cndmask_b32_e32 v6, v10, v6, vcc_lo
	v_cndmask_b32_e32 v5, v9, v7, vcc_lo
                                        ; implicit-def: $vgpr7
.LBB11_52:
	s_andn2_saveexec_b32 s0, s1
	s_cbranch_execz .LBB11_54
; %bb.53:
	v_cvt_f32_u32_e32 v5, s18
	s_sub_i32 s1, 0, s18
	v_rcp_iflag_f32_e32 v5, v5
	v_mul_f32_e32 v5, 0x4f7ffffe, v5
	v_cvt_u32_f32_e32 v5, v5
	v_mul_lo_u32 v6, s1, v5
	v_mul_hi_u32 v6, v5, v6
	v_add_nc_u32_e32 v5, v5, v6
	v_mul_hi_u32 v5, v7, v5
	v_mul_lo_u32 v6, v5, s18
	v_sub_nc_u32_e32 v6, v7, v6
	v_add_nc_u32_e32 v7, 1, v5
	v_subrev_nc_u32_e32 v8, s18, v6
	v_cmp_le_u32_e32 vcc_lo, s18, v6
	v_cndmask_b32_e32 v6, v6, v8, vcc_lo
	v_cndmask_b32_e32 v5, v5, v7, vcc_lo
	v_cmp_le_u32_e32 vcc_lo, s18, v6
	v_add_nc_u32_e32 v7, 1, v5
	v_mov_b32_e32 v6, 0
	v_cndmask_b32_e32 v5, v5, v7, vcc_lo
.LBB11_54:
	s_or_b32 exec_lo, exec_lo, s0
	s_waitcnt lgkmcnt(0)
	v_lshlrev_b32_e32 v9, 3, v0
	v_lshlrev_b32_e32 v7, 4, v0
	s_cmp_eq_u64 s[20:21], 0
	ds_write2st64_b64 v9, v[1:2], v[3:4] offset1:4
	v_add_nc_u32_e32 v8, v9, v7
	ds_write_b64 v9, v[5:6] offset:4096
	s_waitcnt lgkmcnt(0)
	s_barrier
	buffer_gl0_inv
	ds_read2_b64 v[1:4], v8 offset1:1
	ds_read_b64 v[5:6], v8 offset:16
	s_cbranch_scc1 .LBB11_59
; %bb.55:
	s_andn2_b32 vcc_lo, exec_lo, s37
	s_cbranch_vccnz .LBB11_60
; %bb.56:
	s_lshl_b64 s[0:1], s[20:21], 3
	s_add_u32 s0, s14, s0
	s_addc_u32 s1, s15, s1
	s_add_u32 s0, s0, -8
	s_addc_u32 s1, s1, -1
	s_load_dwordx2 s[8:9], s[0:1], 0x0
	s_cbranch_execz .LBB11_61
	s_branch .LBB11_64
.LBB11_57:
	v_lshlrev_b32_e32 v6, 2, v0
	v_mov_b32_e32 v11, v5
	v_mov_b32_e32 v12, v5
	v_add_co_u32 v6, s0, s33, v6
	v_add_co_ci_u32_e64 v7, null, s36, 0, s0
	flat_load_dword v10, v[6:7]
	s_waitcnt vmcnt(0) lgkmcnt(0)
	v_mov_b32_e32 v5, v10
	v_mov_b32_e32 v6, v11
	;; [unrolled: 1-line block ×3, first 2 shown]
	s_or_b32 exec_lo, exec_lo, s3
	s_and_saveexec_b32 s0, s1
	s_cbranch_execz .LBB11_35
.LBB11_58:
	v_lshlrev_b32_e32 v6, 2, v0
	v_add_co_u32 v10, s1, s33, v6
	v_add_co_ci_u32_e64 v11, null, s36, 0, s1
	flat_load_dword v6, v[10:11] offset:1024
	s_or_b32 exec_lo, exec_lo, s0
	s_and_saveexec_b32 s0, s2
	s_cbranch_execnz .LBB11_36
	s_branch .LBB11_37
.LBB11_59:
                                        ; implicit-def: $sgpr8_sgpr9
	s_branch .LBB11_65
.LBB11_60:
                                        ; implicit-def: $sgpr8_sgpr9
.LBB11_61:
	s_add_u32 s0, s16, -1
	s_addc_u32 s1, s17, -1
	s_or_b64 s[2:3], s[0:1], s[18:19]
	s_mov_b32 s2, 0
	s_cmp_lg_u64 s[2:3], 0
	s_cbranch_scc0 .LBB11_143
; %bb.62:
	v_cvt_f32_u32_e32 v9, s18
	v_cvt_f32_u32_e32 v10, s19
	s_waitcnt lgkmcnt(0)
	s_sub_u32 s9, 0, s18
	s_subb_u32 s14, 0, s19
	v_fmamk_f32 v9, v10, 0x4f800000, v9
	v_rcp_f32_e32 v9, v9
	v_mul_f32_e32 v9, 0x5f7ffffc, v9
	v_mul_f32_e32 v10, 0x2f800000, v9
	v_trunc_f32_e32 v10, v10
	v_fmamk_f32 v9, v10, 0xcf800000, v9
	v_cvt_u32_f32_e32 v10, v10
	v_cvt_u32_f32_e32 v9, v9
	v_readfirstlane_b32 s3, v10
	v_readfirstlane_b32 s8, v9
	s_mul_i32 s15, s9, s3
	s_mul_hi_u32 s21, s9, s8
	s_mul_i32 s20, s14, s8
	s_add_i32 s15, s21, s15
	s_mul_i32 s22, s9, s8
	s_add_i32 s15, s15, s20
	s_mul_hi_u32 s21, s8, s22
	s_mul_i32 s34, s8, s15
	s_mul_hi_u32 s23, s3, s22
	s_mul_i32 s20, s3, s22
	s_mul_hi_u32 s22, s8, s15
	s_add_u32 s21, s21, s34
	s_addc_u32 s22, 0, s22
	s_mul_hi_u32 s35, s3, s15
	s_add_u32 s20, s21, s20
	s_mul_i32 s15, s3, s15
	s_addc_u32 s20, s22, s23
	s_addc_u32 s21, s35, 0
	s_add_u32 s15, s20, s15
	s_addc_u32 s20, 0, s21
	s_add_u32 s8, s8, s15
	s_cselect_b32 s15, -1, 0
	s_mul_hi_u32 s21, s9, s8
	s_cmp_lg_u32 s15, 0
	s_mul_i32 s15, s9, s8
	s_addc_u32 s3, s3, s20
	s_mul_i32 s14, s14, s8
	s_mul_i32 s9, s9, s3
	s_mul_hi_u32 s20, s8, s15
	s_add_i32 s9, s21, s9
	s_mul_hi_u32 s21, s3, s15
	s_add_i32 s9, s9, s14
	s_mul_i32 s14, s3, s15
	s_mul_i32 s23, s8, s9
	s_mul_hi_u32 s22, s8, s9
	s_add_u32 s20, s20, s23
	s_addc_u32 s22, 0, s22
	s_mul_hi_u32 s15, s3, s9
	s_add_u32 s14, s20, s14
	s_mul_i32 s9, s3, s9
	s_addc_u32 s14, s22, s21
	s_addc_u32 s15, s15, 0
	s_add_u32 s9, s14, s9
	s_addc_u32 s14, 0, s15
	s_add_u32 s8, s8, s9
	s_cselect_b32 s9, -1, 0
	s_mul_hi_u32 s15, s0, s8
	s_cmp_lg_u32 s9, 0
	s_mul_hi_u32 s9, s1, s8
	s_addc_u32 s3, s3, s14
	s_mul_i32 s8, s1, s8
	s_mul_i32 s20, s0, s3
	s_mul_hi_u32 s14, s0, s3
	s_add_u32 s15, s15, s20
	s_addc_u32 s14, 0, s14
	s_mul_hi_u32 s21, s1, s3
	s_add_u32 s8, s15, s8
	s_mul_i32 s3, s1, s3
	s_addc_u32 s8, s14, s9
	s_addc_u32 s9, s21, 0
	s_add_u32 s3, s8, s3
	s_addc_u32 s8, 0, s9
	s_mul_hi_u32 s9, s18, s3
	s_mul_i32 s14, s18, s8
	s_mul_i32 s15, s19, s3
	s_add_i32 s9, s9, s14
	s_mul_i32 s14, s18, s3
	s_add_i32 s9, s9, s15
	s_sub_i32 s15, s1, s9
	s_sub_u32 s14, s0, s14
	s_cselect_b32 s20, -1, 0
	s_cmp_lg_u32 s20, 0
	s_subb_u32 s15, s15, s19
	s_sub_u32 s21, s14, s18
	s_cselect_b32 s22, -1, 0
	s_cmp_lg_u32 s22, 0
	s_subb_u32 s15, s15, 0
	s_cmp_ge_u32 s15, s19
	s_cselect_b32 s22, -1, 0
	s_cmp_ge_u32 s21, s18
	s_cselect_b32 s21, -1, 0
	s_cmp_eq_u32 s15, s19
	s_cselect_b32 s15, s21, s22
	s_add_u32 s21, s3, 1
	s_addc_u32 s22, s8, 0
	s_add_u32 s23, s3, 2
	s_addc_u32 s34, s8, 0
	s_cmp_lg_u32 s15, 0
	s_cselect_b32 s15, s23, s21
	s_cselect_b32 s21, s34, s22
	s_cmp_lg_u32 s20, 0
	s_subb_u32 s1, s1, s9
	s_cmp_ge_u32 s1, s19
	s_cselect_b32 s9, -1, 0
	s_cmp_ge_u32 s14, s18
	s_cselect_b32 s14, -1, 0
	s_cmp_eq_u32 s1, s19
	s_cselect_b32 s1, s14, s9
	s_cmp_lg_u32 s1, 0
	s_cselect_b32 s9, s21, s8
	s_cselect_b32 s8, s15, s3
	s_andn2_b32 vcc_lo, exec_lo, s2
	s_cbranch_vccnz .LBB11_64
.LBB11_63:
	v_cvt_f32_u32_e32 v9, s18
	s_sub_i32 s2, 0, s18
	s_waitcnt lgkmcnt(0)
	s_mov_b32 s9, 0
	v_rcp_iflag_f32_e32 v9, v9
	v_mul_f32_e32 v9, 0x4f7ffffe, v9
	v_cvt_u32_f32_e32 v9, v9
	v_readfirstlane_b32 s1, v9
	s_mul_i32 s2, s2, s1
	s_mul_hi_u32 s2, s1, s2
	s_add_i32 s1, s1, s2
	s_mul_hi_u32 s1, s0, s1
	s_mul_i32 s2, s1, s18
	s_sub_i32 s0, s0, s2
	s_add_i32 s2, s1, 1
	s_sub_i32 s3, s0, s18
	s_cmp_ge_u32 s0, s18
	s_cselect_b32 s1, s2, s1
	s_cselect_b32 s0, s3, s0
	s_add_i32 s2, s1, 1
	s_cmp_ge_u32 s0, s18
	s_cselect_b32 s8, s2, s1
.LBB11_64:
	s_cbranch_execnz .LBB11_68
.LBB11_65:
	s_or_b64 s[0:1], s[16:17], s[18:19]
	s_mov_b32 s0, 0
	s_cmp_lg_u64 s[0:1], 0
	s_cbranch_scc0 .LBB11_141
; %bb.66:
	v_cvt_f32_u32_e32 v9, s18
	v_cvt_f32_u32_e32 v10, s19
	s_sub_u32 s3, 0, s18
	s_waitcnt lgkmcnt(0)
	s_subb_u32 s8, 0, s19
	v_fmamk_f32 v9, v10, 0x4f800000, v9
	v_rcp_f32_e32 v9, v9
	v_mul_f32_e32 v9, 0x5f7ffffc, v9
	v_mul_f32_e32 v10, 0x2f800000, v9
	v_trunc_f32_e32 v10, v10
	v_fmamk_f32 v9, v10, 0xcf800000, v9
	v_cvt_u32_f32_e32 v10, v10
	v_cvt_u32_f32_e32 v9, v9
	v_readfirstlane_b32 s1, v10
	v_readfirstlane_b32 s2, v9
	s_mul_i32 s9, s3, s1
	s_mul_hi_u32 s15, s3, s2
	s_mul_i32 s14, s8, s2
	s_add_i32 s9, s15, s9
	s_mul_i32 s20, s3, s2
	s_add_i32 s9, s9, s14
	s_mul_hi_u32 s15, s2, s20
	s_mul_i32 s22, s2, s9
	s_mul_hi_u32 s21, s1, s20
	s_mul_i32 s14, s1, s20
	s_mul_hi_u32 s20, s2, s9
	s_add_u32 s15, s15, s22
	s_addc_u32 s20, 0, s20
	s_mul_hi_u32 s23, s1, s9
	s_add_u32 s14, s15, s14
	s_mul_i32 s9, s1, s9
	s_addc_u32 s14, s20, s21
	s_addc_u32 s15, s23, 0
	s_add_u32 s9, s14, s9
	s_addc_u32 s14, 0, s15
	s_add_u32 s2, s2, s9
	s_cselect_b32 s9, -1, 0
	s_mul_hi_u32 s15, s3, s2
	s_cmp_lg_u32 s9, 0
	s_mul_i32 s9, s3, s2
	s_addc_u32 s1, s1, s14
	s_mul_i32 s8, s8, s2
	s_mul_i32 s3, s3, s1
	s_mul_hi_u32 s14, s2, s9
	s_add_i32 s3, s15, s3
	s_mul_hi_u32 s15, s1, s9
	s_add_i32 s3, s3, s8
	s_mul_i32 s8, s1, s9
	s_mul_i32 s21, s2, s3
	s_mul_hi_u32 s20, s2, s3
	s_add_u32 s14, s14, s21
	s_addc_u32 s20, 0, s20
	s_mul_hi_u32 s9, s1, s3
	s_add_u32 s8, s14, s8
	s_mul_i32 s3, s1, s3
	s_addc_u32 s8, s20, s15
	s_addc_u32 s9, s9, 0
	s_add_u32 s3, s8, s3
	s_addc_u32 s8, 0, s9
	s_add_u32 s2, s2, s3
	s_cselect_b32 s3, -1, 0
	s_mul_hi_u32 s9, s16, s2
	s_cmp_lg_u32 s3, 0
	s_mul_hi_u32 s3, s17, s2
	s_addc_u32 s1, s1, s8
	s_mul_i32 s2, s17, s2
	s_mul_i32 s14, s16, s1
	s_mul_hi_u32 s8, s16, s1
	s_add_u32 s9, s9, s14
	s_addc_u32 s8, 0, s8
	s_mul_hi_u32 s15, s17, s1
	s_add_u32 s2, s9, s2
	s_mul_i32 s1, s17, s1
	s_addc_u32 s2, s8, s3
	s_addc_u32 s3, s15, 0
	s_add_u32 s1, s2, s1
	s_addc_u32 s2, 0, s3
	s_mul_hi_u32 s3, s18, s1
	s_mul_i32 s8, s18, s2
	s_mul_i32 s9, s19, s1
	s_add_i32 s3, s3, s8
	s_mul_i32 s8, s18, s1
	s_add_i32 s3, s3, s9
	s_sub_i32 s9, s17, s3
	s_sub_u32 s8, s16, s8
	s_cselect_b32 s14, -1, 0
	s_cmp_lg_u32 s14, 0
	s_subb_u32 s9, s9, s19
	s_sub_u32 s15, s8, s18
	s_cselect_b32 s20, -1, 0
	s_cmp_lg_u32 s20, 0
	s_subb_u32 s9, s9, 0
	s_cmp_ge_u32 s9, s19
	s_cselect_b32 s20, -1, 0
	s_cmp_ge_u32 s15, s18
	s_cselect_b32 s15, -1, 0
	s_cmp_eq_u32 s9, s19
	s_cselect_b32 s9, s15, s20
	s_add_u32 s15, s1, 1
	s_addc_u32 s20, s2, 0
	s_add_u32 s21, s1, 2
	s_addc_u32 s22, s2, 0
	s_cmp_lg_u32 s9, 0
	s_cselect_b32 s15, s21, s15
	s_cselect_b32 s9, s22, s20
	s_cmp_lg_u32 s14, 0
	s_subb_u32 s3, s17, s3
	s_cmp_ge_u32 s3, s19
	s_cselect_b32 s14, -1, 0
	s_cmp_ge_u32 s8, s18
	s_cselect_b32 s8, -1, 0
	s_cmp_eq_u32 s3, s19
	s_cselect_b32 s3, s8, s14
	s_cmp_lg_u32 s3, 0
	s_cselect_b32 s9, s9, s2
	s_cselect_b32 s8, s15, s1
	s_andn2_b32 vcc_lo, exec_lo, s0
	s_cbranch_vccnz .LBB11_68
.LBB11_67:
	v_cvt_f32_u32_e32 v9, s18
	s_sub_i32 s1, 0, s18
	s_waitcnt lgkmcnt(0)
	s_mov_b32 s9, 0
	v_rcp_iflag_f32_e32 v9, v9
	v_mul_f32_e32 v9, 0x4f7ffffe, v9
	v_cvt_u32_f32_e32 v9, v9
	v_readfirstlane_b32 s0, v9
	s_mul_i32 s1, s1, s0
	s_mul_hi_u32 s1, s0, s1
	s_add_i32 s0, s0, s1
	s_mul_hi_u32 s0, s16, s0
	s_mul_i32 s1, s0, s18
	s_add_i32 s2, s0, 1
	s_sub_i32 s1, s16, s1
	s_sub_i32 s3, s1, s18
	s_cmp_ge_u32 s1, s18
	s_cselect_b32 s0, s2, s0
	s_cselect_b32 s1, s3, s1
	s_add_i32 s2, s0, 1
	s_cmp_ge_u32 s1, s18
	s_cselect_b32 s8, s2, s0
.LBB11_68:
	v_sub_nc_u32_e32 v7, v8, v7
	s_waitcnt lgkmcnt(0)
	v_mov_b32_e32 v8, s8
	v_mov_b32_e32 v9, s9
	s_mov_b32 s0, exec_lo
	ds_write_b64 v7, v[5:6] offset:6144
	s_waitcnt lgkmcnt(0)
	s_barrier
	buffer_gl0_inv
	v_cmpx_ne_u32_e32 0, v0
; %bb.69:
	ds_read_b64 v[8:9], v7 offset:6136
; %bb.70:
	s_or_b32 exec_lo, exec_lo, s0
	v_lshlrev_b32_e32 v10, 2, v0
	s_waitcnt lgkmcnt(0)
	s_barrier
	buffer_gl0_inv
	v_cmp_ne_u64_e64 s2, v[3:4], v[5:6]
	v_add_co_u32 v10, s0, s33, v10
	v_add_co_ci_u32_e64 v11, null, s36, 0, s0
	s_mov_b32 s1, -1
	v_add_co_u32 v12, vcc_lo, 0x800, v10
	v_add_co_ci_u32_e64 v13, null, 0, v11, vcc_lo
	v_cmp_ne_u64_e32 vcc_lo, v[8:9], v[1:2]
	s_clause 0x2
	flat_load_dword v14, v[10:11]
	flat_load_dword v10, v[10:11] offset:1024
	flat_load_dword v11, v[12:13]
	v_lshlrev_b32_e32 v12, 2, v0
	v_sub_nc_u32_e32 v7, v7, v12
	s_waitcnt vmcnt(1) lgkmcnt(1)
	ds_write2st64_b32 v7, v14, v10 offset1:4
	s_waitcnt vmcnt(0) lgkmcnt(1)
	ds_write_b32 v7, v11 offset:2048
	v_lshl_add_u32 v12, v0, 3, v7
	s_waitcnt lgkmcnt(0)
	s_barrier
	buffer_gl0_inv
	ds_read2_b32 v[13:14], v12 offset1:1
	ds_read_b32 v7, v12 offset:8
	v_cndmask_b32_e64 v10, 0, 1, vcc_lo
	v_cmp_ne_u64_e32 vcc_lo, v[1:2], v[3:4]
	v_cndmask_b32_e64 v12, 0, 1, vcc_lo
	s_waitcnt lgkmcnt(1)
	v_mov_b32_e32 v9, v13
	v_mov_b32_e32 v11, v14
.LBB11_71:
	v_mov_b32_e32 v13, 0
	v_mov_b32_e32 v14, 0
	s_and_saveexec_b32 s0, s1
	s_cbranch_execz .LBB11_73
; %bb.72:
	v_cndmask_b32_e64 v14, 0, 1, s2
	s_waitcnt lgkmcnt(0)
	v_mov_b32_e32 v13, v7
.LBB11_73:
	s_or_b32 exec_lo, exec_lo, s0
	s_load_dwordx2 s[8:9], s[4:5], 0x20
	v_or_b32_e32 v19, v12, v14
	v_lshrrev_b32_e32 v18, 2, v0
	s_cmp_lg_u32 s6, 0
	s_mov_b32 s2, 0
	s_waitcnt lgkmcnt(0)
	v_cmp_gt_u32_e32 vcc_lo, 32, v0
	s_barrier
	buffer_gl0_inv
	s_cbranch_scc0 .LBB11_101
; %bb.74:
	s_mov_b32 s3, 1
	v_and_b32_e32 v2, 0xff, v19
	v_cmp_gt_u64_e64 s0, s[2:3], v[11:12]
	v_cmp_gt_u64_e64 s1, s[2:3], v[13:14]
	v_and_b32_e32 v4, 56, v18
	v_cndmask_b32_e64 v1, 0, v9, s0
	v_add_nc_u32_e32 v3, v1, v11
	v_mov_b32_e32 v1, 0
	v_cndmask_b32_e64 v3, 0, v3, s1
	v_cmp_eq_u64_e64 s2, 0, v[1:2]
	v_lshl_add_u32 v1, v0, 3, v4
	v_add_nc_u32_e32 v20, v3, v13
	v_cndmask_b32_e64 v21, 1, v10, s2
	ds_write_b8 v1, v21 offset:4
	ds_write_b32 v1, v20
	s_waitcnt lgkmcnt(0)
	s_barrier
	buffer_gl0_inv
	s_and_saveexec_b32 s3, vcc_lo
	s_cbranch_execz .LBB11_84
; %bb.75:
	v_lshlrev_b32_e32 v1, 1, v0
	v_lshlrev_b32_e32 v2, 6, v0
	s_mov_b32 s4, exec_lo
	v_and_b32_e32 v1, 0x1f8, v1
	v_add_nc_u32_e32 v3, v1, v2
	ds_read_u8 v8, v3 offset:12
	ds_read_b64 v[1:2], v3
	ds_read2_b32 v[4:5], v3 offset0:2 offset1:4
	ds_read_u8 v15, v3 offset:20
	ds_read_u8 v16, v3 offset:28
	;; [unrolled: 1-line block ×5, first 2 shown]
	ds_read_b32 v24, v3 offset:56
	ds_read2_b32 v[6:7], v3 offset0:6 offset1:8
	s_waitcnt lgkmcnt(9)
	v_cmp_eq_u16_e64 s2, 0, v8
	s_waitcnt lgkmcnt(6)
	v_or_b32_e32 v8, v15, v8
	v_cndmask_b32_e64 v25, 0, v1, s2
	v_cmp_eq_u16_e64 s2, 0, v15
	ds_read_u8 v15, v3 offset:60
	s_waitcnt lgkmcnt(6)
	v_or_b32_e32 v8, v8, v16
	v_add_nc_u32_e32 v4, v25, v4
	v_cndmask_b32_e64 v4, 0, v4, s2
	v_cmp_eq_u16_e64 s2, 0, v16
	v_add_nc_u32_e32 v4, v4, v5
	v_cndmask_b32_e64 v25, 0, v4, s2
	ds_read2_b32 v[4:5], v3 offset0:10 offset1:12
	s_waitcnt lgkmcnt(6)
	v_cmp_eq_u16_e64 s2, 0, v17
	s_waitcnt lgkmcnt(2)
	v_add_nc_u32_e32 v6, v25, v6
	v_cndmask_b32_e64 v6, 0, v6, s2
	v_cmp_eq_u16_e64 s2, 0, v22
	v_add_nc_u32_e32 v6, v6, v7
	v_or_b32_e32 v7, v8, v17
	s_waitcnt lgkmcnt(1)
	v_and_b32_e32 v8, 1, v15
	v_cndmask_b32_e64 v6, 0, v6, s2
	v_or_b32_e32 v7, v7, v22
	v_cmp_eq_u16_e64 s2, 0, v23
	s_waitcnt lgkmcnt(0)
	v_add_nc_u32_e32 v6, v6, v4
	v_or_b32_e32 v7, v7, v23
	v_and_b32_e32 v4, 1, v2
	v_cndmask_b32_e64 v6, 0, v6, s2
	v_cmp_eq_u16_e64 s2, 0, v7
	v_add_nc_u32_e32 v6, v6, v5
	v_cndmask_b32_e64 v7, 1, v4, s2
	v_cmp_eq_u32_e64 s2, 1, v8
	v_and_b32_e32 v5, 0xffffff00, v2
	v_cndmask_b32_e64 v8, v7, 1, s2
	v_cmp_eq_u16_e64 s2, 0, v15
	v_mbcnt_lo_u32_b32 v7, -1, 0
	v_or_b32_sdwa v16, v5, v8 dst_sel:DWORD dst_unused:UNUSED_PAD src0_sel:DWORD src1_sel:WORD_0
	v_cndmask_b32_e64 v6, 0, v6, s2
	v_and_b32_e32 v15, 15, v7
	v_mov_b32_dpp v22, v16 row_shr:1 row_mask:0xf bank_mask:0xf
	v_add_nc_u32_e32 v6, v6, v24
	v_mov_b32_dpp v17, v6 row_shr:1 row_mask:0xf bank_mask:0xf
	v_cmpx_ne_u32_e32 0, v15
	s_cbranch_execz .LBB11_77
; %bb.76:
	v_and_b32_e32 v16, 1, v8
	v_cmp_eq_u16_e64 s2, 0, v8
	v_and_b32_e32 v22, 1, v22
	v_cndmask_b32_e64 v8, 0, v17, s2
	v_cmp_eq_u32_e64 s2, 1, v16
	v_add_nc_u32_e32 v6, v8, v6
	v_cndmask_b32_e64 v17, v22, 1, s2
	v_or_b32_sdwa v16, v5, v17 dst_sel:DWORD dst_unused:UNUSED_PAD src0_sel:DWORD src1_sel:WORD_0
	v_mov_b32_e32 v8, v17
.LBB11_77:
	s_or_b32 exec_lo, exec_lo, s4
	v_mov_b32_dpp v17, v6 row_shr:2 row_mask:0xf bank_mask:0xf
	v_mov_b32_dpp v22, v16 row_shr:2 row_mask:0xf bank_mask:0xf
	s_mov_b32 s4, exec_lo
	v_cmpx_lt_u32_e32 1, v15
	s_cbranch_execz .LBB11_79
; %bb.78:
	v_and_b32_e32 v16, 1, v8
	v_cmp_eq_u16_e64 s2, 0, v8
	v_and_b32_e32 v22, 1, v22
	v_cndmask_b32_e64 v8, 0, v17, s2
	v_cmp_eq_u32_e64 s2, 1, v16
	v_add_nc_u32_e32 v6, v8, v6
	v_cndmask_b32_e64 v17, v22, 1, s2
	v_or_b32_sdwa v16, v5, v17 dst_sel:DWORD dst_unused:UNUSED_PAD src0_sel:DWORD src1_sel:WORD_0
	v_mov_b32_e32 v8, v17
.LBB11_79:
	s_or_b32 exec_lo, exec_lo, s4
	v_mov_b32_dpp v17, v6 row_shr:4 row_mask:0xf bank_mask:0xf
	v_mov_b32_dpp v22, v16 row_shr:4 row_mask:0xf bank_mask:0xf
	s_mov_b32 s4, exec_lo
	v_cmpx_lt_u32_e32 3, v15
	;; [unrolled: 17-line block ×3, first 2 shown]
	s_cbranch_execz .LBB11_83
; %bb.82:
	v_and_b32_e32 v15, 1, v8
	v_cmp_eq_u16_e64 s2, 0, v8
	v_and_b32_e32 v16, 1, v22
	v_cndmask_b32_e64 v8, 0, v17, s2
	v_cmp_eq_u32_e64 s2, 1, v15
	v_add_nc_u32_e32 v6, v8, v6
	v_cndmask_b32_e64 v15, v16, 1, s2
	v_or_b32_sdwa v16, v5, v15 dst_sel:DWORD dst_unused:UNUSED_PAD src0_sel:DWORD src1_sel:WORD_0
	v_mov_b32_e32 v8, v15
.LBB11_83:
	s_or_b32 exec_lo, exec_lo, s4
	ds_swizzle_b32 v15, v16 offset:swizzle(BROADCAST,32,15)
	ds_swizzle_b32 v16, v6 offset:swizzle(BROADCAST,32,15)
	v_and_b32_e32 v23, 1, v8
	v_cmp_eq_u16_e64 s2, 0, v8
	v_add_nc_u32_e32 v24, -1, v7
	v_and_b32_e32 v17, 16, v7
	v_bfe_i32 v22, v7, 4, 1
	; wave barrier
	s_waitcnt lgkmcnt(1)
	v_and_b32_e32 v15, 1, v15
	s_waitcnt lgkmcnt(0)
	v_cndmask_b32_e64 v16, 0, v16, s2
	v_cmp_eq_u32_e64 s2, 1, v23
	v_and_b32_e32 v16, v22, v16
	v_cndmask_b32_e64 v15, v15, 1, s2
	v_cmp_gt_i32_e64 s2, 0, v24
	v_add_nc_u32_e32 v6, v16, v6
	v_cndmask_b32_e64 v7, v24, v7, s2
	v_cmp_eq_u32_e64 s2, 0, v17
	v_lshlrev_b32_e32 v7, 2, v7
	v_cndmask_b32_e64 v8, v15, v8, s2
	ds_bpermute_b32 v6, v7, v6
	v_or_b32_sdwa v5, v5, v8 dst_sel:DWORD dst_unused:UNUSED_PAD src0_sel:DWORD src1_sel:WORD_0
	ds_bpermute_b32 v5, v7, v5
	v_mov_b32_e32 v7, 0
	v_cmp_eq_u16_sdwa s2, v2, v7 src0_sel:BYTE_0 src1_sel:DWORD
	s_waitcnt lgkmcnt(1)
	v_cndmask_b32_e64 v2, 0, v6, s2
	v_cmp_eq_u32_e64 s2, 1, v4
	v_add_nc_u32_e32 v1, v2, v1
	s_waitcnt lgkmcnt(0)
	v_and_b32_e32 v5, 1, v5
	v_cndmask_b32_e64 v2, v5, 1, s2
	v_cmp_eq_u32_e64 s2, 0, v0
	v_cndmask_b32_e64 v4, v1, v20, s2
	v_cndmask_b32_e64 v6, v2, v21, s2
	ds_write_b32 v3, v4
	ds_write_b8 v3, v6 offset:4
	; wave barrier
	ds_read_u8 v7, v3 offset:12
	ds_read2_b32 v[1:2], v3 offset0:2 offset1:4
	ds_read_u8 v8, v3 offset:20
	ds_read_u8 v15, v3 offset:28
	;; [unrolled: 1-line block ×5, first 2 shown]
	ds_read_b32 v23, v3 offset:56
	ds_read_u8 v24, v3 offset:60
	s_waitcnt lgkmcnt(8)
	v_cmp_eq_u16_e64 s2, 0, v7
	v_and_b32_e32 v7, 1, v7
	v_cndmask_b32_e64 v25, 0, v4, s2
	ds_read2_b32 v[4:5], v3 offset0:6 offset1:8
	s_waitcnt lgkmcnt(7)
	v_cmp_eq_u16_e64 s2, 0, v8
	v_and_b32_e32 v8, 1, v8
	s_waitcnt lgkmcnt(1)
	v_and_b32_e32 v28, 1, v24
	v_add_nc_u32_e32 v25, v25, v1
	v_cndmask_b32_e64 v1, 0, v25, s2
	v_cmp_eq_u16_e64 s2, 0, v15
	v_and_b32_e32 v15, 1, v15
	v_add_nc_u32_e32 v26, v1, v2
	ds_read2_b32 v[1:2], v3 offset0:10 offset1:12
	v_cndmask_b32_e64 v27, 0, v26, s2
	v_cmp_eq_u16_e64 s2, 0, v16
	v_and_b32_e32 v16, 1, v16
	s_waitcnt lgkmcnt(1)
	v_add_nc_u32_e32 v4, v27, v4
	v_cndmask_b32_e64 v27, 0, v4, s2
	v_cmp_eq_u32_e64 s2, 1, v7
	v_and_b32_e32 v7, 1, v17
	v_add_nc_u32_e32 v5, v27, v5
	v_cndmask_b32_e64 v6, v6, 1, s2
	v_cmp_eq_u16_e64 s2, 0, v17
	v_and_b32_e32 v27, 1, v22
	ds_write_b8 v3, v6 offset:12
	v_cndmask_b32_e64 v17, 0, v5, s2
	v_cmp_eq_u32_e64 s2, 1, v8
	s_waitcnt lgkmcnt(1)
	v_add_nc_u32_e32 v1, v17, v1
	v_cndmask_b32_e64 v8, v6, 1, s2
	v_cmp_eq_u32_e64 s2, 1, v15
	ds_write_b8 v3, v8 offset:20
	ds_write2_b32 v3, v25, v26 offset0:2 offset1:4
	v_cndmask_b32_e64 v15, v8, 1, s2
	v_cmp_eq_u16_e64 s2, 0, v22
	ds_write_b8 v3, v15 offset:28
	v_cndmask_b32_e64 v6, 0, v1, s2
	v_cmp_eq_u32_e64 s2, 1, v16
	v_add_nc_u32_e32 v2, v6, v2
	v_cndmask_b32_e64 v16, v15, 1, s2
	v_cmp_eq_u32_e64 s2, 1, v7
	v_cndmask_b32_e64 v6, v16, 1, s2
	v_cmp_eq_u16_e64 s2, 0, v24
	ds_write_b8 v3, v16 offset:36
	ds_write_b8 v3, v6 offset:44
	v_cndmask_b32_e64 v7, 0, v2, s2
	v_cmp_eq_u32_e64 s2, 1, v27
	v_cndmask_b32_e64 v8, v6, 1, s2
	v_cmp_eq_u32_e64 s2, 1, v28
	v_add_nc_u32_e32 v6, v7, v23
	v_cndmask_b32_e64 v7, v8, 1, s2
	ds_write_b8 v3, v8 offset:52
	ds_write2_b32 v3, v4, v5 offset0:6 offset1:8
	ds_write2_b32 v3, v1, v2 offset0:10 offset1:12
	ds_write_b32 v3, v6 offset:56
	ds_write_b8 v3, v7 offset:60
.LBB11_84:
	s_or_b32 exec_lo, exec_lo, s3
	v_cmp_eq_u32_e64 s2, 0, v0
	s_mov_b32 s4, exec_lo
	s_waitcnt lgkmcnt(0)
	s_barrier
	buffer_gl0_inv
	v_cmpx_ne_u32_e32 0, v0
	s_cbranch_execz .LBB11_86
; %bb.85:
	v_add_nc_u32_e32 v1, -1, v0
	v_lshrrev_b32_e32 v2, 2, v1
	v_and_b32_e32 v2, 0x3ffffff8, v2
	v_lshl_add_u32 v1, v1, 3, v2
	ds_read_b32 v20, v1
	ds_read_u8 v21, v1 offset:4
.LBB11_86:
	s_or_b32 exec_lo, exec_lo, s4
	s_and_saveexec_b32 s16, vcc_lo
	s_cbranch_execz .LBB11_106
; %bb.87:
	v_mov_b32_e32 v4, 0
	v_mbcnt_lo_u32_b32 v22, -1, 0
	s_mov_b32 s5, 0
	ds_read_b64 v[1:2], v4 offset:2096
	v_cmp_eq_u32_e64 s3, 0, v22
	s_and_saveexec_b32 s14, s3
	s_cbranch_execz .LBB11_89
; %bb.88:
	s_add_i32 s4, s6, 32
	v_mov_b32_e32 v3, 1
	s_lshl_b64 s[4:5], s[4:5], 4
	s_add_u32 s4, s24, s4
	s_addc_u32 s5, s25, s5
	v_mov_b32_e32 v6, s5
	v_mov_b32_e32 v5, s4
	s_waitcnt lgkmcnt(0)
	;;#ASMSTART
	global_store_dwordx4 v[5:6], v[1:4] off	
s_waitcnt vmcnt(0)
	;;#ASMEND
.LBB11_89:
	s_or_b32 exec_lo, exec_lo, s14
	v_xad_u32 v15, v22, -1, s6
	v_add_nc_u32_e32 v3, 32, v15
	v_lshlrev_b64 v[5:6], 4, v[3:4]
	v_add_co_u32 v16, vcc_lo, s24, v5
	v_add_co_ci_u32_e64 v17, null, s25, v6, vcc_lo
	;;#ASMSTART
	global_load_dwordx4 v[5:8], v[16:17] off glc dlc	
s_waitcnt vmcnt(0)
	;;#ASMEND
	v_and_b32_e32 v6, 0xff, v6
	v_cmp_eq_u16_sdwa s5, v7, v4 src0_sel:BYTE_0 src1_sel:DWORD
	s_and_saveexec_b32 s4, s5
	s_cbranch_execz .LBB11_93
; %bb.90:
	v_mov_b32_e32 v3, 0
	s_mov_b32 s5, 0
.LBB11_91:                              ; =>This Inner Loop Header: Depth=1
	;;#ASMSTART
	global_load_dwordx4 v[5:8], v[16:17] off glc dlc	
s_waitcnt vmcnt(0)
	;;#ASMEND
	v_cmp_ne_u16_sdwa s14, v7, v3 src0_sel:BYTE_0 src1_sel:DWORD
	s_or_b32 s5, s14, s5
	s_andn2_b32 exec_lo, exec_lo, s5
	s_cbranch_execnz .LBB11_91
; %bb.92:
	s_or_b32 exec_lo, exec_lo, s5
	v_and_b32_e32 v6, 0xff, v6
.LBB11_93:
	s_or_b32 exec_lo, exec_lo, s4
	v_cmp_ne_u32_e32 vcc_lo, 31, v22
	v_mov_b32_e32 v23, 2
	v_lshlrev_b32_e64 v24, v22, -1
	v_and_b32_e32 v8, 1, v6
	s_mov_b32 s14, 0
	v_add_co_ci_u32_e64 v3, null, 0, v22, vcc_lo
	v_cmp_eq_u16_sdwa s4, v7, v23 src0_sel:BYTE_0 src1_sel:DWORD
	v_cmp_eq_u32_e32 vcc_lo, 1, v8
	s_mov_b32 s15, 1
	v_lshlrev_b32_e32 v17, 2, v3
	v_add_nc_u32_e32 v32, 8, v22
	v_and_or_b32 v4, s4, v24, 0x80000000
	v_cmp_gt_u64_e64 s4, s[14:15], v[5:6]
	v_lshl_or_b32 v33, v22, 2, 64
	ds_bpermute_b32 v3, v17, v6
	ds_bpermute_b32 v16, v17, v5
	v_ffbl_b32_e32 v4, v4
	v_add_nc_u32_e32 v34, 16, v22
	s_waitcnt lgkmcnt(1)
	v_and_b32_e32 v3, 1, v3
	v_cndmask_b32_e64 v3, v3, 1, vcc_lo
	v_cmp_gt_u32_e32 vcc_lo, 30, v22
	v_and_b32_e32 v26, 0xffff, v3
	v_cndmask_b32_e64 v8, 0, 2, vcc_lo
	v_cmp_lt_u32_e32 vcc_lo, v22, v4
	v_add_lshl_u32 v25, v8, v22, 2
	v_cndmask_b32_e32 v8, v6, v26, vcc_lo
	v_cndmask_b32_e32 v3, v6, v3, vcc_lo
	s_and_b32 vcc_lo, vcc_lo, s4
	s_waitcnt lgkmcnt(0)
	v_cndmask_b32_e32 v6, 0, v16, vcc_lo
	ds_bpermute_b32 v26, v25, v8
	v_and_b32_e32 v16, 1, v3
	v_add_nc_u32_e32 v5, v6, v5
	v_cmp_eq_u32_e32 vcc_lo, 1, v16
	v_mov_b32_e32 v16, 0
	ds_bpermute_b32 v6, v25, v5
	v_cmp_eq_u16_sdwa s4, v3, v16 src0_sel:BYTE_0 src1_sel:DWORD
	s_waitcnt lgkmcnt(1)
	v_and_b32_e32 v27, 1, v26
	v_add_nc_u32_e32 v26, 2, v22
	v_cndmask_b32_e64 v28, v27, 1, vcc_lo
	v_cmp_gt_u32_e32 vcc_lo, 28, v22
	v_and_b32_e32 v29, 0xffff, v28
	v_cndmask_b32_e64 v27, 0, 4, vcc_lo
	v_cmp_gt_u32_e32 vcc_lo, v26, v4
	v_add_lshl_u32 v27, v27, v22, 2
	v_cndmask_b32_e32 v8, v29, v8, vcc_lo
	v_cndmask_b32_e32 v30, v28, v3, vcc_lo
	s_waitcnt lgkmcnt(0)
	v_cndmask_b32_e64 v3, 0, v6, s4
	v_add_nc_u32_e32 v28, 4, v22
	ds_bpermute_b32 v6, v27, v8
	v_and_b32_e32 v29, 1, v30
	v_cndmask_b32_e64 v3, v3, 0, vcc_lo
	v_cmp_eq_u16_sdwa s4, v30, v16 src0_sel:BYTE_0 src1_sel:DWORD
	v_cmp_eq_u32_e32 vcc_lo, 1, v29
	v_add_nc_u32_e32 v3, v3, v5
	ds_bpermute_b32 v5, v27, v3
	s_waitcnt lgkmcnt(1)
	v_and_b32_e32 v6, 1, v6
	v_cndmask_b32_e64 v6, v6, 1, vcc_lo
	v_cmp_gt_u32_e32 vcc_lo, 24, v22
	v_and_b32_e32 v31, 0xffff, v6
	v_cndmask_b32_e64 v29, 0, 8, vcc_lo
	v_cmp_gt_u32_e32 vcc_lo, v28, v4
	s_waitcnt lgkmcnt(0)
	v_cndmask_b32_e64 v5, 0, v5, s4
	v_add_lshl_u32 v29, v29, v22, 2
	v_cndmask_b32_e32 v8, v31, v8, vcc_lo
	v_cndmask_b32_e32 v6, v6, v30, vcc_lo
	v_cndmask_b32_e64 v5, v5, 0, vcc_lo
	ds_bpermute_b32 v30, v29, v8
	v_and_b32_e32 v31, 1, v6
	v_add_nc_u32_e32 v3, v5, v3
	v_cmp_eq_u32_e32 vcc_lo, 1, v31
	ds_bpermute_b32 v5, v29, v3
	s_waitcnt lgkmcnt(1)
	v_and_b32_e32 v30, 1, v30
	v_cndmask_b32_e64 v30, v30, 1, vcc_lo
	v_cmp_eq_u16_sdwa vcc_lo, v6, v16 src0_sel:BYTE_0 src1_sel:DWORD
	v_and_b32_e32 v31, 0xffff, v30
	s_waitcnt lgkmcnt(0)
	v_cndmask_b32_e32 v5, 0, v5, vcc_lo
	v_cmp_gt_u32_e32 vcc_lo, v32, v4
	v_cndmask_b32_e64 v5, v5, 0, vcc_lo
	v_cndmask_b32_e32 v8, v31, v8, vcc_lo
	v_cndmask_b32_e32 v6, v30, v6, vcc_lo
	v_add_nc_u32_e32 v3, v5, v3
	ds_bpermute_b32 v5, v33, v8
	v_and_b32_e32 v30, 1, v6
	v_cmp_eq_u16_sdwa vcc_lo, v6, v16 src0_sel:BYTE_0 src1_sel:DWORD
	ds_bpermute_b32 v8, v33, v3
	s_waitcnt lgkmcnt(1)
	v_and_b32_e32 v5, 1, v5
	s_waitcnt lgkmcnt(0)
	v_cndmask_b32_e32 v8, 0, v8, vcc_lo
	v_cmp_eq_u32_e32 vcc_lo, 1, v30
	v_cndmask_b32_e64 v5, v5, 1, vcc_lo
	v_cmp_gt_u32_e32 vcc_lo, v34, v4
	v_cndmask_b32_e32 v4, v5, v6, vcc_lo
	v_cndmask_b32_e64 v5, v8, 0, vcc_lo
	v_add_nc_u32_e32 v3, v5, v3
	s_branch .LBB11_97
.LBB11_94:                              ;   in Loop: Header=BB11_97 Depth=1
	s_or_b32 exec_lo, exec_lo, s5
	v_and_b32_e32 v6, 0xff, v6
.LBB11_95:                              ;   in Loop: Header=BB11_97 Depth=1
	s_or_b32 exec_lo, exec_lo, s4
	ds_bpermute_b32 v3, v17, v6
	v_cmp_eq_u16_sdwa s4, v7, v23 src0_sel:BYTE_0 src1_sel:DWORD
	v_and_b32_e32 v4, 1, v6
	v_subrev_nc_u32_e32 v15, 32, v15
	v_and_or_b32 v8, s4, v24, 0x80000000
	v_cmp_eq_u32_e32 vcc_lo, 1, v4
	v_cmp_gt_u64_e64 s4, s[14:15], v[5:6]
	v_ffbl_b32_e32 v4, v8
	ds_bpermute_b32 v8, v17, v5
	s_waitcnt lgkmcnt(1)
	v_and_b32_e32 v3, 1, v3
	v_cndmask_b32_e64 v3, v3, 1, vcc_lo
	v_cmp_lt_u32_e32 vcc_lo, v22, v4
	v_and_b32_e32 v35, 0xffff, v3
	v_cndmask_b32_e32 v3, v6, v3, vcc_lo
	v_cndmask_b32_e32 v35, v6, v35, vcc_lo
	s_and_b32 vcc_lo, vcc_lo, s4
	v_cmp_eq_u16_sdwa s4, v3, v16 src0_sel:BYTE_0 src1_sel:DWORD
	s_waitcnt lgkmcnt(0)
	v_cndmask_b32_e32 v6, 0, v8, vcc_lo
	v_and_b32_e32 v8, 1, v3
	ds_bpermute_b32 v36, v25, v35
	v_add_nc_u32_e32 v5, v6, v5
	v_cmp_eq_u32_e32 vcc_lo, 1, v8
	ds_bpermute_b32 v6, v25, v5
	s_waitcnt lgkmcnt(1)
	v_and_b32_e32 v36, 1, v36
	v_cndmask_b32_e64 v8, v36, 1, vcc_lo
	v_cmp_gt_u32_e32 vcc_lo, v26, v4
	v_and_b32_e32 v36, 0xffff, v8
	v_cndmask_b32_e32 v8, v8, v3, vcc_lo
	s_waitcnt lgkmcnt(0)
	v_cndmask_b32_e64 v3, 0, v6, s4
	v_cndmask_b32_e32 v35, v36, v35, vcc_lo
	v_and_b32_e32 v36, 1, v8
	v_cndmask_b32_e64 v3, v3, 0, vcc_lo
	v_cmp_eq_u16_sdwa s4, v8, v16 src0_sel:BYTE_0 src1_sel:DWORD
	ds_bpermute_b32 v6, v27, v35
	v_cmp_eq_u32_e32 vcc_lo, 1, v36
	v_add_nc_u32_e32 v3, v3, v5
	ds_bpermute_b32 v5, v27, v3
	s_waitcnt lgkmcnt(1)
	v_and_b32_e32 v6, 1, v6
	v_cndmask_b32_e64 v6, v6, 1, vcc_lo
	v_cmp_gt_u32_e32 vcc_lo, v28, v4
	s_waitcnt lgkmcnt(0)
	v_cndmask_b32_e64 v5, 0, v5, s4
	s_mov_b32 s4, 0
	v_and_b32_e32 v36, 0xffff, v6
	v_cndmask_b32_e32 v6, v6, v8, vcc_lo
	v_cndmask_b32_e64 v5, v5, 0, vcc_lo
	v_cndmask_b32_e32 v8, v36, v35, vcc_lo
	v_and_b32_e32 v36, 1, v6
	v_add_nc_u32_e32 v3, v5, v3
	ds_bpermute_b32 v35, v29, v8
	v_cmp_eq_u32_e32 vcc_lo, 1, v36
	ds_bpermute_b32 v5, v29, v3
	s_waitcnt lgkmcnt(1)
	v_and_b32_e32 v35, 1, v35
	v_cndmask_b32_e64 v35, v35, 1, vcc_lo
	v_cmp_eq_u16_sdwa vcc_lo, v6, v16 src0_sel:BYTE_0 src1_sel:DWORD
	v_and_b32_e32 v36, 0xffff, v35
	s_waitcnt lgkmcnt(0)
	v_cndmask_b32_e32 v5, 0, v5, vcc_lo
	v_cmp_gt_u32_e32 vcc_lo, v32, v4
	v_cndmask_b32_e64 v5, v5, 0, vcc_lo
	v_cndmask_b32_e32 v8, v36, v8, vcc_lo
	v_cndmask_b32_e32 v6, v35, v6, vcc_lo
	v_add_nc_u32_e32 v3, v5, v3
	ds_bpermute_b32 v5, v33, v8
	v_and_b32_e32 v35, 1, v6
	ds_bpermute_b32 v8, v33, v3
	v_cmp_eq_u32_e32 vcc_lo, 1, v35
	s_waitcnt lgkmcnt(1)
	v_cndmask_b32_e64 v5, v5, 1, vcc_lo
	v_cmp_eq_u16_sdwa vcc_lo, v6, v16 src0_sel:BYTE_0 src1_sel:DWORD
	s_waitcnt lgkmcnt(0)
	v_cndmask_b32_e32 v8, 0, v8, vcc_lo
	v_cmp_gt_u32_e32 vcc_lo, v34, v4
	v_cndmask_b32_e32 v4, v5, v6, vcc_lo
	v_cndmask_b32_e64 v5, v8, 0, vcc_lo
	v_cmp_eq_u16_sdwa vcc_lo, v30, v16 src0_sel:BYTE_0 src1_sel:DWORD
	v_and_b32_e32 v4, 1, v4
	v_add_nc_u32_e32 v3, v5, v3
	v_and_b32_e32 v5, 1, v30
	v_cndmask_b32_e32 v3, 0, v3, vcc_lo
	v_cmp_eq_u32_e32 vcc_lo, 1, v5
	v_add_nc_u32_e32 v3, v3, v31
	v_cndmask_b32_e64 v4, v4, 1, vcc_lo
.LBB11_96:                              ;   in Loop: Header=BB11_97 Depth=1
	s_and_b32 vcc_lo, exec_lo, s4
	s_cbranch_vccnz .LBB11_102
.LBB11_97:                              ; =>This Loop Header: Depth=1
                                        ;     Child Loop BB11_100 Depth 2
	v_cmp_ne_u16_sdwa s4, v7, v23 src0_sel:BYTE_0 src1_sel:DWORD
	v_mov_b32_e32 v30, v4
	v_mov_b32_e32 v31, v3
                                        ; implicit-def: $vgpr4
                                        ; implicit-def: $vgpr3
                                        ; implicit-def: $vgpr7
	s_cmp_lg_u32 s4, exec_lo
	s_mov_b32 s4, -1
	s_cbranch_scc1 .LBB11_96
; %bb.98:                               ;   in Loop: Header=BB11_97 Depth=1
	v_lshlrev_b64 v[3:4], 4, v[15:16]
	v_add_co_u32 v3, vcc_lo, s24, v3
	v_add_co_ci_u32_e64 v4, null, s25, v4, vcc_lo
	;;#ASMSTART
	global_load_dwordx4 v[5:8], v[3:4] off glc dlc	
s_waitcnt vmcnt(0)
	;;#ASMEND
	v_and_b32_e32 v6, 0xff, v6
	v_cmp_eq_u16_sdwa s5, v7, v16 src0_sel:BYTE_0 src1_sel:DWORD
	s_and_saveexec_b32 s4, s5
	s_cbranch_execz .LBB11_95
; %bb.99:                               ;   in Loop: Header=BB11_97 Depth=1
	s_mov_b32 s5, 0
.LBB11_100:                             ;   Parent Loop BB11_97 Depth=1
                                        ; =>  This Inner Loop Header: Depth=2
	;;#ASMSTART
	global_load_dwordx4 v[5:8], v[3:4] off glc dlc	
s_waitcnt vmcnt(0)
	;;#ASMEND
	v_cmp_ne_u16_sdwa s17, v7, v16 src0_sel:BYTE_0 src1_sel:DWORD
	s_or_b32 s5, s17, s5
	s_andn2_b32 exec_lo, exec_lo, s5
	s_cbranch_execnz .LBB11_100
	s_branch .LBB11_94
.LBB11_101:
                                        ; implicit-def: $vgpr7
                                        ; implicit-def: $vgpr5
                                        ; implicit-def: $vgpr6
	s_cbranch_execnz .LBB11_107
	s_branch .LBB11_124
.LBB11_102:
	s_and_saveexec_b32 s4, s3
	s_cbranch_execz .LBB11_104
; %bb.103:
	v_mov_b32_e32 v4, 0
	v_and_b32_e32 v3, 1, v2
	s_mov_b32 s15, 0
	s_add_i32 s14, s6, 32
	v_and_b32_e32 v5, 1, v30
	v_cmp_eq_u32_sdwa vcc_lo, v2, v4 src0_sel:BYTE_0 src1_sel:DWORD
	s_lshl_b64 s[14:15], s[14:15], 4
	s_add_u32 s14, s24, s14
	s_addc_u32 s15, s25, s15
	v_cndmask_b32_e32 v2, 0, v31, vcc_lo
	v_cmp_eq_u32_e32 vcc_lo, 1, v3
	v_mov_b32_e32 v3, 2
	v_add_nc_u32_e32 v1, v2, v1
	v_cndmask_b32_e64 v2, v5, 1, vcc_lo
	v_mov_b32_e32 v5, s14
	v_mov_b32_e32 v6, s15
	;;#ASMSTART
	global_store_dwordx4 v[5:6], v[1:4] off	
s_waitcnt vmcnt(0)
	;;#ASMEND
.LBB11_104:
	s_or_b32 exec_lo, exec_lo, s4
	s_and_b32 exec_lo, exec_lo, s2
	s_cbranch_execz .LBB11_106
; %bb.105:
	v_mov_b32_e32 v1, 0
	ds_write_b32 v1, v31
	ds_write_b8 v1, v30 offset:4
.LBB11_106:
	s_or_b32 exec_lo, exec_lo, s16
	v_mov_b32_e32 v1, 0
	v_and_b32_e32 v3, 1, v10
	s_waitcnt lgkmcnt(0)
	s_barrier
	buffer_gl0_inv
	ds_read_b32 v2, v1
	v_cmp_eq_u32_e32 vcc_lo, 1, v3
	s_mov_b32 s5, 1
	s_mov_b32 s4, 0
	v_cndmask_b32_e64 v3, v21, 1, vcc_lo
	v_cmp_gt_u64_e32 vcc_lo, s[4:5], v[9:10]
	v_cndmask_b32_e64 v3, v3, v10, s2
	v_cndmask_b32_e32 v4, 0, v20, vcc_lo
	v_cmp_eq_u16_sdwa vcc_lo, v3, v1 src0_sel:BYTE_0 src1_sel:DWORD
	v_cndmask_b32_e64 v4, v4, 0, s2
	s_waitcnt lgkmcnt(0)
	v_cndmask_b32_e32 v1, 0, v2, vcc_lo
	v_add3_u32 v7, v4, v9, v1
	v_cndmask_b32_e64 v1, 0, v7, s0
	v_add_nc_u32_e32 v5, v1, v11
	v_cndmask_b32_e64 v1, 0, v5, s1
	v_add_nc_u32_e32 v6, v1, v13
	s_branch .LBB11_124
.LBB11_107:
	s_cmp_lg_u64 s[30:31], 0
	v_cmp_eq_u32_e32 vcc_lo, 0, v0
	s_cselect_b32 s1, -1, 0
	s_cmp_lg_u64 s[10:11], 0
	v_cmp_ne_u32_e64 s0, 0, v0
	s_cselect_b32 s2, -1, 0
	s_and_b32 s1, s1, s2
	s_mov_b32 s2, 0
	s_and_b32 s1, vcc_lo, s1
	s_and_saveexec_b32 s4, s1
	s_cbranch_execz .LBB11_109
; %bb.108:
	v_mov_b32_e32 v1, 0
	s_mov_b32 s3, 1
	s_clause 0x1
	global_load_dword v2, v1, s[10:11]
	global_load_ubyte v3, v1, s[10:11] offset:4
	v_cmp_gt_u64_e64 s1, s[2:3], v[9:10]
	s_waitcnt vmcnt(1)
	v_cndmask_b32_e64 v4, 0, v2, s1
	v_and_b32_e32 v2, 1, v10
	s_waitcnt vmcnt(0)
	v_and_b32_e32 v3, 1, v3
	v_add_nc_u32_e32 v9, v4, v9
	v_cmp_eq_u64_e64 s1, 0, v[1:2]
	v_cndmask_b32_e64 v10, 1, v3, s1
.LBB11_109:
	s_or_b32 exec_lo, exec_lo, s4
	s_mov_b32 s3, 1
	v_and_b32_e32 v2, 0xff, v19
	v_cmp_gt_u64_e64 s1, s[2:3], v[11:12]
	v_cmp_gt_u64_e64 s2, s[2:3], v[13:14]
	v_and_b32_e32 v3, 56, v18
	s_mov_b32 s4, exec_lo
	v_cndmask_b32_e64 v1, 0, v9, s1
	v_add_nc_u32_e32 v5, v1, v11
	v_mov_b32_e32 v1, 0
	v_cndmask_b32_e64 v6, 0, v5, s2
	v_cmp_eq_u64_e64 s3, 0, v[1:2]
	v_lshl_add_u32 v1, v0, 3, v3
	v_add_nc_u32_e32 v6, v6, v13
	v_cndmask_b32_e64 v4, 1, v10, s3
	ds_write_b8 v1, v4 offset:4
	ds_write_b32 v1, v6
	s_waitcnt lgkmcnt(0)
	s_barrier
	buffer_gl0_inv
	v_cmpx_gt_u32_e32 32, v0
	s_cbranch_execz .LBB11_119
; %bb.110:
	v_lshlrev_b32_e32 v1, 1, v0
	v_lshlrev_b32_e32 v2, 6, v0
	s_mov_b32 s5, exec_lo
	v_and_b32_e32 v1, 0x1f8, v1
	v_add_nc_u32_e32 v3, v1, v2
	ds_read_u8 v12, v3 offset:12
	ds_read_b64 v[1:2], v3
	ds_read2_b32 v[7:8], v3 offset0:2 offset1:4
	ds_read_u8 v16, v3 offset:20
	ds_read_u8 v17, v3 offset:28
	;; [unrolled: 1-line block ×5, first 2 shown]
	ds_read_b32 v21, v3 offset:56
	ds_read2_b32 v[14:15], v3 offset0:6 offset1:8
	s_waitcnt lgkmcnt(9)
	v_cmp_eq_u16_e64 s3, 0, v12
	s_waitcnt lgkmcnt(6)
	v_or_b32_e32 v12, v16, v12
	v_cndmask_b32_e64 v22, 0, v1, s3
	v_cmp_eq_u16_e64 s3, 0, v16
	ds_read_u8 v16, v3 offset:60
	s_waitcnt lgkmcnt(6)
	v_or_b32_e32 v12, v12, v17
	v_add_nc_u32_e32 v7, v22, v7
	s_waitcnt lgkmcnt(5)
	v_or_b32_e32 v12, v12, v18
	v_cndmask_b32_e64 v7, 0, v7, s3
	v_cmp_eq_u16_e64 s3, 0, v17
	s_waitcnt lgkmcnt(4)
	v_or_b32_e32 v12, v12, v19
	v_add_nc_u32_e32 v7, v7, v8
	s_waitcnt lgkmcnt(3)
	v_or_b32_e32 v12, v12, v20
	v_cndmask_b32_e64 v22, 0, v7, s3
	ds_read2_b32 v[7:8], v3 offset0:10 offset1:12
	v_cmp_eq_u16_e64 s3, 0, v18
	s_waitcnt lgkmcnt(2)
	v_add_nc_u32_e32 v14, v22, v14
	v_cndmask_b32_e64 v14, 0, v14, s3
	v_cmp_eq_u16_e64 s3, 0, v19
	v_add_nc_u32_e32 v14, v14, v15
	s_waitcnt lgkmcnt(1)
	v_and_b32_e32 v15, 1, v16
	v_cndmask_b32_e64 v14, 0, v14, s3
	v_cmp_eq_u16_e64 s3, 0, v20
	s_waitcnt lgkmcnt(0)
	v_add_nc_u32_e32 v14, v14, v7
	v_and_b32_e32 v7, 1, v2
	v_cndmask_b32_e64 v14, 0, v14, s3
	v_cmp_eq_u16_e64 s3, 0, v12
	v_add_nc_u32_e32 v14, v14, v8
	v_cndmask_b32_e64 v12, 1, v7, s3
	v_cmp_eq_u32_e64 s3, 1, v15
	v_and_b32_e32 v8, 0xffffff00, v2
	v_cndmask_b32_e64 v15, v12, 1, s3
	v_cmp_eq_u16_e64 s3, 0, v16
	v_or_b32_sdwa v17, v8, v15 dst_sel:DWORD dst_unused:UNUSED_PAD src0_sel:DWORD src1_sel:WORD_0
	v_cndmask_b32_e64 v12, 0, v14, s3
	v_mbcnt_lo_u32_b32 v14, -1, 0
	v_mov_b32_dpp v19, v17 row_shr:1 row_mask:0xf bank_mask:0xf
	v_add_nc_u32_e32 v12, v12, v21
	v_and_b32_e32 v16, 15, v14
	v_mov_b32_dpp v18, v12 row_shr:1 row_mask:0xf bank_mask:0xf
	v_cmpx_ne_u32_e32 0, v16
	s_cbranch_execz .LBB11_112
; %bb.111:
	v_and_b32_e32 v17, 1, v15
	v_cmp_eq_u16_e64 s3, 0, v15
	v_and_b32_e32 v19, 1, v19
	v_cndmask_b32_e64 v15, 0, v18, s3
	v_cmp_eq_u32_e64 s3, 1, v17
	v_add_nc_u32_e32 v12, v15, v12
	v_cndmask_b32_e64 v18, v19, 1, s3
	v_or_b32_sdwa v17, v8, v18 dst_sel:DWORD dst_unused:UNUSED_PAD src0_sel:DWORD src1_sel:WORD_0
	v_mov_b32_e32 v15, v18
.LBB11_112:
	s_or_b32 exec_lo, exec_lo, s5
	v_mov_b32_dpp v18, v12 row_shr:2 row_mask:0xf bank_mask:0xf
	v_mov_b32_dpp v19, v17 row_shr:2 row_mask:0xf bank_mask:0xf
	s_mov_b32 s5, exec_lo
	v_cmpx_lt_u32_e32 1, v16
	s_cbranch_execz .LBB11_114
; %bb.113:
	v_and_b32_e32 v17, 1, v15
	v_cmp_eq_u16_e64 s3, 0, v15
	v_and_b32_e32 v19, 1, v19
	v_cndmask_b32_e64 v15, 0, v18, s3
	v_cmp_eq_u32_e64 s3, 1, v17
	v_add_nc_u32_e32 v12, v15, v12
	v_cndmask_b32_e64 v18, v19, 1, s3
	v_or_b32_sdwa v17, v8, v18 dst_sel:DWORD dst_unused:UNUSED_PAD src0_sel:DWORD src1_sel:WORD_0
	v_mov_b32_e32 v15, v18
.LBB11_114:
	s_or_b32 exec_lo, exec_lo, s5
	v_mov_b32_dpp v18, v12 row_shr:4 row_mask:0xf bank_mask:0xf
	v_mov_b32_dpp v19, v17 row_shr:4 row_mask:0xf bank_mask:0xf
	s_mov_b32 s5, exec_lo
	v_cmpx_lt_u32_e32 3, v16
	;; [unrolled: 17-line block ×3, first 2 shown]
	s_cbranch_execz .LBB11_118
; %bb.117:
	v_and_b32_e32 v16, 1, v15
	v_cmp_eq_u16_e64 s3, 0, v15
	v_and_b32_e32 v17, 1, v19
	v_cndmask_b32_e64 v15, 0, v18, s3
	v_cmp_eq_u32_e64 s3, 1, v16
	v_add_nc_u32_e32 v12, v15, v12
	v_cndmask_b32_e64 v16, v17, 1, s3
	v_or_b32_sdwa v17, v8, v16 dst_sel:DWORD dst_unused:UNUSED_PAD src0_sel:DWORD src1_sel:WORD_0
	v_mov_b32_e32 v15, v16
.LBB11_118:
	s_or_b32 exec_lo, exec_lo, s5
	ds_swizzle_b32 v16, v17 offset:swizzle(BROADCAST,32,15)
	ds_swizzle_b32 v17, v12 offset:swizzle(BROADCAST,32,15)
	v_and_b32_e32 v20, 1, v15
	v_cmp_eq_u16_e64 s3, 0, v15
	v_add_nc_u32_e32 v21, -1, v14
	v_and_b32_e32 v18, 16, v14
	v_bfe_i32 v19, v14, 4, 1
	; wave barrier
	s_waitcnt lgkmcnt(1)
	v_and_b32_e32 v16, 1, v16
	s_waitcnt lgkmcnt(0)
	v_cndmask_b32_e64 v17, 0, v17, s3
	v_cmp_eq_u32_e64 s3, 1, v20
	v_and_b32_e32 v17, v19, v17
	v_cndmask_b32_e64 v16, v16, 1, s3
	v_cmp_gt_i32_e64 s3, 0, v21
	v_add_nc_u32_e32 v12, v17, v12
	v_cndmask_b32_e64 v14, v21, v14, s3
	v_cmp_eq_u32_e64 s3, 0, v18
	v_lshlrev_b32_e32 v14, 2, v14
	v_cndmask_b32_e64 v15, v16, v15, s3
	ds_bpermute_b32 v12, v14, v12
	v_or_b32_sdwa v8, v8, v15 dst_sel:DWORD dst_unused:UNUSED_PAD src0_sel:DWORD src1_sel:WORD_0
	ds_bpermute_b32 v8, v14, v8
	v_mov_b32_e32 v14, 0
	v_cmp_eq_u16_sdwa s3, v2, v14 src0_sel:BYTE_0 src1_sel:DWORD
	s_waitcnt lgkmcnt(1)
	v_cndmask_b32_e64 v2, 0, v12, s3
	v_cmp_eq_u32_e64 s3, 1, v7
	v_add_nc_u32_e32 v1, v2, v1
	s_waitcnt lgkmcnt(0)
	v_and_b32_e32 v8, 1, v8
	v_cndmask_b32_e32 v7, v1, v6, vcc_lo
	v_cndmask_b32_e64 v2, v8, 1, s3
	v_cndmask_b32_e32 v4, v2, v4, vcc_lo
	ds_write_b32 v3, v7
	ds_write_b8 v3, v4 offset:4
	; wave barrier
	ds_read_u8 v12, v3 offset:12
	ds_read2_b32 v[1:2], v3 offset0:2 offset1:4
	ds_read_u8 v14, v3 offset:20
	ds_read_u8 v15, v3 offset:28
	;; [unrolled: 1-line block ×5, first 2 shown]
	ds_read_b32 v19, v3 offset:56
	ds_read_u8 v20, v3 offset:60
	s_waitcnt lgkmcnt(8)
	v_cmp_eq_u16_e64 s3, 0, v12
	v_and_b32_e32 v12, 1, v12
	v_cndmask_b32_e64 v21, 0, v7, s3
	ds_read2_b32 v[7:8], v3 offset0:6 offset1:8
	s_waitcnt lgkmcnt(7)
	v_cmp_eq_u16_e64 s3, 0, v14
	v_and_b32_e32 v14, 1, v14
	s_waitcnt lgkmcnt(1)
	v_and_b32_e32 v24, 1, v20
	v_add_nc_u32_e32 v21, v21, v1
	v_cndmask_b32_e64 v1, 0, v21, s3
	v_cmp_eq_u16_e64 s3, 0, v15
	v_and_b32_e32 v15, 1, v15
	v_add_nc_u32_e32 v22, v1, v2
	ds_read2_b32 v[1:2], v3 offset0:10 offset1:12
	v_cndmask_b32_e64 v23, 0, v22, s3
	v_cmp_eq_u16_e64 s3, 0, v16
	v_and_b32_e32 v16, 1, v16
	s_waitcnt lgkmcnt(1)
	v_add_nc_u32_e32 v7, v23, v7
	v_cndmask_b32_e64 v23, 0, v7, s3
	v_cmp_eq_u32_e64 s3, 1, v12
	v_and_b32_e32 v12, 1, v17
	v_add_nc_u32_e32 v8, v23, v8
	v_cndmask_b32_e64 v4, v4, 1, s3
	v_cmp_eq_u16_e64 s3, 0, v17
	v_and_b32_e32 v23, 1, v18
	ds_write_b8 v3, v4 offset:12
	v_cndmask_b32_e64 v17, 0, v8, s3
	v_cmp_eq_u32_e64 s3, 1, v14
	s_waitcnt lgkmcnt(1)
	v_add_nc_u32_e32 v1, v17, v1
	v_cndmask_b32_e64 v14, v4, 1, s3
	v_cmp_eq_u32_e64 s3, 1, v15
	ds_write_b8 v3, v14 offset:20
	ds_write2_b32 v3, v21, v22 offset0:2 offset1:4
	v_cndmask_b32_e64 v15, v14, 1, s3
	v_cmp_eq_u16_e64 s3, 0, v18
	ds_write_b8 v3, v15 offset:28
	v_cndmask_b32_e64 v4, 0, v1, s3
	v_cmp_eq_u32_e64 s3, 1, v16
	v_add_nc_u32_e32 v2, v4, v2
	v_cndmask_b32_e64 v16, v15, 1, s3
	v_cmp_eq_u32_e64 s3, 1, v12
	v_cndmask_b32_e64 v4, v16, 1, s3
	v_cmp_eq_u16_e64 s3, 0, v20
	ds_write_b8 v3, v16 offset:36
	ds_write_b8 v3, v4 offset:44
	v_cndmask_b32_e64 v12, 0, v2, s3
	v_cmp_eq_u32_e64 s3, 1, v23
	v_cndmask_b32_e64 v14, v4, 1, s3
	v_cmp_eq_u32_e64 s3, 1, v24
	v_add_nc_u32_e32 v4, v12, v19
	v_cndmask_b32_e64 v12, v14, 1, s3
	ds_write_b8 v3, v14 offset:52
	ds_write2_b32 v3, v7, v8 offset0:6 offset1:8
	ds_write2_b32 v3, v1, v2 offset0:10 offset1:12
	ds_write_b32 v3, v4 offset:56
	ds_write_b8 v3, v12 offset:60
.LBB11_119:
	s_or_b32 exec_lo, exec_lo, s4
	s_waitcnt lgkmcnt(0)
	s_barrier
	buffer_gl0_inv
	s_and_saveexec_b32 s3, s0
	s_cbranch_execz .LBB11_121
; %bb.120:
	v_add_nc_u32_e32 v1, -1, v0
	s_mov_b32 s4, 0
	s_mov_b32 s5, 1
	v_cmp_gt_u64_e64 s0, s[4:5], v[9:10]
	v_lshrrev_b32_e32 v2, 2, v1
	v_and_b32_e32 v2, 0x3ffffff8, v2
	v_lshl_add_u32 v1, v1, 3, v2
	ds_read_b32 v1, v1
	;;#ASMSTART
	;;#ASMEND
	s_waitcnt lgkmcnt(0)
	v_cndmask_b32_e64 v1, 0, v1, s0
	v_add_nc_u32_e32 v9, v1, v9
	v_cndmask_b32_e64 v1, 0, v9, s1
	v_add_nc_u32_e32 v5, v1, v11
	;; [unrolled: 2-line block ×3, first 2 shown]
.LBB11_121:
	s_or_b32 exec_lo, exec_lo, s3
	s_and_saveexec_b32 s0, vcc_lo
	s_cbranch_execz .LBB11_123
; %bb.122:
	v_mov_b32_e32 v4, 0
	s_add_u32 s2, s24, 0x200
	s_addc_u32 s3, s25, 0
	v_mov_b32_e32 v3, 2
	v_mov_b32_e32 v8, s3
	ds_read_b32 v1, v4 offset:2096
	ds_read_u8 v2, v4 offset:2100
	v_mov_b32_e32 v7, s2
	s_waitcnt lgkmcnt(0)
	;;#ASMSTART
	global_store_dwordx4 v[7:8], v[1:4] off	
s_waitcnt vmcnt(0)
	;;#ASMEND
.LBB11_123:
	s_or_b32 exec_lo, exec_lo, s0
	v_mov_b32_e32 v7, v9
.LBB11_124:
	s_add_u32 s0, s8, s28
	v_mov_b32_e32 v3, 0
	s_addc_u32 s1, s9, s29
	s_add_u32 s0, s0, s12
	s_addc_u32 s1, s1, s13
	s_and_b32 vcc_lo, exec_lo, s7
	s_cbranch_vccz .LBB11_136
; %bb.125:
	v_mul_u32_u24_e32 v1, 3, v0
	v_mov_b32_e32 v4, 0
	v_mov_b32_e32 v2, 0
	s_add_i32 s27, s27, s26
	s_mov_b32 s2, exec_lo
	v_cmpx_gt_u32_e64 s27, v1
	s_cbranch_execz .LBB11_131
; %bb.126:
	v_add_nc_u32_e32 v3, 1, v1
	v_mov_b32_e32 v2, 0
	v_mov_b32_e32 v4, 0
	s_mov_b32 s3, exec_lo
	v_cmpx_gt_u32_e64 s27, v3
	s_cbranch_execz .LBB11_130
; %bb.127:
	v_add_nc_u32_e32 v2, 2, v1
	v_cmp_gt_u32_e32 vcc_lo, s27, v2
	v_mov_b32_e32 v2, 0
	s_and_saveexec_b32 s4, vcc_lo
; %bb.128:
	v_mov_b32_e32 v2, v6
; %bb.129:
	s_or_b32 exec_lo, exec_lo, s4
	v_mov_b32_e32 v4, v5
.LBB11_130:
	s_or_b32 exec_lo, exec_lo, s3
	v_mov_b32_e32 v3, v7
.LBB11_131:
	s_or_b32 exec_lo, exec_lo, s2
	v_lshlrev_b32_e32 v8, 2, v1
	v_lshlrev_b32_e32 v9, 3, v0
	s_barrier
	buffer_gl0_inv
	ds_write2_b32 v8, v3, v4 offset1:1
	v_sub_nc_u32_e32 v1, v8, v9
	ds_write_b32 v8, v2 offset:8
	s_waitcnt lgkmcnt(0)
	s_barrier
	buffer_gl0_inv
	ds_read2st64_b32 v[1:2], v1 offset0:4 offset1:8
	v_lshlrev_b32_e32 v3, 2, v0
	v_add_co_u32 v3, s2, s0, v3
	v_add_co_ci_u32_e64 v4, null, s1, 0, s2
	s_mov_b32 s2, exec_lo
	v_cmpx_gt_u32_e64 s27, v0
	s_cbranch_execz .LBB11_133
; %bb.132:
	v_sub_nc_u32_e32 v9, 0, v9
	v_add_nc_u32_e32 v8, v8, v9
	ds_read_b32 v8, v8
	s_waitcnt lgkmcnt(0)
	flat_store_dword v[3:4], v8
.LBB11_133:
	s_or_b32 exec_lo, exec_lo, s2
	v_or_b32_e32 v8, 0x100, v0
	s_mov_b32 s2, exec_lo
	v_cmpx_gt_u32_e64 s27, v8
	s_cbranch_execz .LBB11_135
; %bb.134:
	s_waitcnt lgkmcnt(0)
	flat_store_dword v[3:4], v1 offset:1024
.LBB11_135:
	s_or_b32 exec_lo, exec_lo, s2
	s_waitcnt lgkmcnt(0)
	v_or_b32_e32 v1, 0x200, v0
	v_cmp_gt_u32_e64 s2, s27, v1
	s_branch .LBB11_138
.LBB11_136:
	s_mov_b32 s2, 0
                                        ; implicit-def: $vgpr2
	s_cbranch_execz .LBB11_138
; %bb.137:
	v_mul_u32_u24_e32 v1, 12, v0
	v_lshlrev_b32_e32 v2, 3, v0
	s_waitcnt_vscnt null, 0x0
	s_barrier
	buffer_gl0_inv
	ds_write2_b32 v1, v7, v5 offset1:1
	v_sub_nc_u32_e32 v2, v1, v2
	ds_write_b32 v1, v6 offset:8
	s_waitcnt lgkmcnt(0)
	s_barrier
	buffer_gl0_inv
	ds_read2st64_b32 v[3:4], v2 offset1:4
	ds_read_b32 v2, v2 offset:2048
	v_lshlrev_b32_e32 v1, 2, v0
	s_or_b32 s2, s2, exec_lo
	v_add_co_u32 v5, s3, s0, v1
	v_add_co_ci_u32_e64 v6, null, s1, 0, s3
	s_waitcnt lgkmcnt(1)
	flat_store_dword v[5:6], v3
	flat_store_dword v[5:6], v4 offset:1024
.LBB11_138:
	s_and_saveexec_b32 s3, s2
	s_cbranch_execnz .LBB11_140
; %bb.139:
	s_endpgm
.LBB11_140:
	v_lshlrev_b32_e32 v0, 2, v0
	v_add_co_u32 v0, s0, s0, v0
	v_add_co_ci_u32_e64 v1, null, s1, 0, s0
	v_add_co_u32 v0, vcc_lo, 0x800, v0
	v_add_co_ci_u32_e64 v1, null, 0, v1, vcc_lo
	s_waitcnt lgkmcnt(2)
	flat_store_dword v[0:1], v2
	s_endpgm
.LBB11_141:
                                        ; implicit-def: $sgpr8_sgpr9
	s_branch .LBB11_67
.LBB11_142:
                                        ; implicit-def: $sgpr8_sgpr9
	s_branch .LBB11_30
.LBB11_143:
                                        ; implicit-def: $sgpr8_sgpr9
	s_branch .LBB11_63
	.section	.rodata,"a",@progbits
	.p2align	6, 0x0
	.amdhsa_kernel _ZN7rocprim17ROCPRIM_400000_NS6detail17trampoline_kernelINS0_14default_configENS1_27scan_by_key_config_selectorImiEEZZNS1_16scan_by_key_implILNS1_25lookback_scan_determinismE0ELb0ES3_N6thrust23THRUST_200600_302600_NS18transform_iteratorI9row_indexNS9_17counting_iteratorImNS9_11use_defaultESD_SD_EESD_SD_EENS9_6detail15normal_iteratorINS9_10device_ptrIiEEEESK_iNS9_4plusIvEENS9_8equal_toIvEEiEE10hipError_tPvRmT2_T3_T4_T5_mT6_T7_P12ihipStream_tbENKUlT_T0_E_clISt17integral_constantIbLb0EES15_EEDaS10_S11_EUlS10_E_NS1_11comp_targetILNS1_3genE8ELNS1_11target_archE1030ELNS1_3gpuE2ELNS1_3repE0EEENS1_30default_config_static_selectorELNS0_4arch9wavefront6targetE0EEEvT1_
		.amdhsa_group_segment_fixed_size 10240
		.amdhsa_private_segment_fixed_size 0
		.amdhsa_kernarg_size 120
		.amdhsa_user_sgpr_count 6
		.amdhsa_user_sgpr_private_segment_buffer 1
		.amdhsa_user_sgpr_dispatch_ptr 0
		.amdhsa_user_sgpr_queue_ptr 0
		.amdhsa_user_sgpr_kernarg_segment_ptr 1
		.amdhsa_user_sgpr_dispatch_id 0
		.amdhsa_user_sgpr_flat_scratch_init 0
		.amdhsa_user_sgpr_private_segment_size 0
		.amdhsa_wavefront_size32 1
		.amdhsa_uses_dynamic_stack 0
		.amdhsa_system_sgpr_private_segment_wavefront_offset 0
		.amdhsa_system_sgpr_workgroup_id_x 1
		.amdhsa_system_sgpr_workgroup_id_y 0
		.amdhsa_system_sgpr_workgroup_id_z 0
		.amdhsa_system_sgpr_workgroup_info 0
		.amdhsa_system_vgpr_workitem_id 0
		.amdhsa_next_free_vgpr 37
		.amdhsa_next_free_sgpr 47
		.amdhsa_reserve_vcc 1
		.amdhsa_reserve_flat_scratch 1
		.amdhsa_float_round_mode_32 0
		.amdhsa_float_round_mode_16_64 0
		.amdhsa_float_denorm_mode_32 3
		.amdhsa_float_denorm_mode_16_64 3
		.amdhsa_dx10_clamp 1
		.amdhsa_ieee_mode 1
		.amdhsa_fp16_overflow 0
		.amdhsa_workgroup_processor_mode 1
		.amdhsa_memory_ordered 1
		.amdhsa_forward_progress 1
		.amdhsa_shared_vgpr_count 0
		.amdhsa_exception_fp_ieee_invalid_op 0
		.amdhsa_exception_fp_denorm_src 0
		.amdhsa_exception_fp_ieee_div_zero 0
		.amdhsa_exception_fp_ieee_overflow 0
		.amdhsa_exception_fp_ieee_underflow 0
		.amdhsa_exception_fp_ieee_inexact 0
		.amdhsa_exception_int_div_zero 0
	.end_amdhsa_kernel
	.section	.text._ZN7rocprim17ROCPRIM_400000_NS6detail17trampoline_kernelINS0_14default_configENS1_27scan_by_key_config_selectorImiEEZZNS1_16scan_by_key_implILNS1_25lookback_scan_determinismE0ELb0ES3_N6thrust23THRUST_200600_302600_NS18transform_iteratorI9row_indexNS9_17counting_iteratorImNS9_11use_defaultESD_SD_EESD_SD_EENS9_6detail15normal_iteratorINS9_10device_ptrIiEEEESK_iNS9_4plusIvEENS9_8equal_toIvEEiEE10hipError_tPvRmT2_T3_T4_T5_mT6_T7_P12ihipStream_tbENKUlT_T0_E_clISt17integral_constantIbLb0EES15_EEDaS10_S11_EUlS10_E_NS1_11comp_targetILNS1_3genE8ELNS1_11target_archE1030ELNS1_3gpuE2ELNS1_3repE0EEENS1_30default_config_static_selectorELNS0_4arch9wavefront6targetE0EEEvT1_,"axG",@progbits,_ZN7rocprim17ROCPRIM_400000_NS6detail17trampoline_kernelINS0_14default_configENS1_27scan_by_key_config_selectorImiEEZZNS1_16scan_by_key_implILNS1_25lookback_scan_determinismE0ELb0ES3_N6thrust23THRUST_200600_302600_NS18transform_iteratorI9row_indexNS9_17counting_iteratorImNS9_11use_defaultESD_SD_EESD_SD_EENS9_6detail15normal_iteratorINS9_10device_ptrIiEEEESK_iNS9_4plusIvEENS9_8equal_toIvEEiEE10hipError_tPvRmT2_T3_T4_T5_mT6_T7_P12ihipStream_tbENKUlT_T0_E_clISt17integral_constantIbLb0EES15_EEDaS10_S11_EUlS10_E_NS1_11comp_targetILNS1_3genE8ELNS1_11target_archE1030ELNS1_3gpuE2ELNS1_3repE0EEENS1_30default_config_static_selectorELNS0_4arch9wavefront6targetE0EEEvT1_,comdat
.Lfunc_end11:
	.size	_ZN7rocprim17ROCPRIM_400000_NS6detail17trampoline_kernelINS0_14default_configENS1_27scan_by_key_config_selectorImiEEZZNS1_16scan_by_key_implILNS1_25lookback_scan_determinismE0ELb0ES3_N6thrust23THRUST_200600_302600_NS18transform_iteratorI9row_indexNS9_17counting_iteratorImNS9_11use_defaultESD_SD_EESD_SD_EENS9_6detail15normal_iteratorINS9_10device_ptrIiEEEESK_iNS9_4plusIvEENS9_8equal_toIvEEiEE10hipError_tPvRmT2_T3_T4_T5_mT6_T7_P12ihipStream_tbENKUlT_T0_E_clISt17integral_constantIbLb0EES15_EEDaS10_S11_EUlS10_E_NS1_11comp_targetILNS1_3genE8ELNS1_11target_archE1030ELNS1_3gpuE2ELNS1_3repE0EEENS1_30default_config_static_selectorELNS0_4arch9wavefront6targetE0EEEvT1_, .Lfunc_end11-_ZN7rocprim17ROCPRIM_400000_NS6detail17trampoline_kernelINS0_14default_configENS1_27scan_by_key_config_selectorImiEEZZNS1_16scan_by_key_implILNS1_25lookback_scan_determinismE0ELb0ES3_N6thrust23THRUST_200600_302600_NS18transform_iteratorI9row_indexNS9_17counting_iteratorImNS9_11use_defaultESD_SD_EESD_SD_EENS9_6detail15normal_iteratorINS9_10device_ptrIiEEEESK_iNS9_4plusIvEENS9_8equal_toIvEEiEE10hipError_tPvRmT2_T3_T4_T5_mT6_T7_P12ihipStream_tbENKUlT_T0_E_clISt17integral_constantIbLb0EES15_EEDaS10_S11_EUlS10_E_NS1_11comp_targetILNS1_3genE8ELNS1_11target_archE1030ELNS1_3gpuE2ELNS1_3repE0EEENS1_30default_config_static_selectorELNS0_4arch9wavefront6targetE0EEEvT1_
                                        ; -- End function
	.set _ZN7rocprim17ROCPRIM_400000_NS6detail17trampoline_kernelINS0_14default_configENS1_27scan_by_key_config_selectorImiEEZZNS1_16scan_by_key_implILNS1_25lookback_scan_determinismE0ELb0ES3_N6thrust23THRUST_200600_302600_NS18transform_iteratorI9row_indexNS9_17counting_iteratorImNS9_11use_defaultESD_SD_EESD_SD_EENS9_6detail15normal_iteratorINS9_10device_ptrIiEEEESK_iNS9_4plusIvEENS9_8equal_toIvEEiEE10hipError_tPvRmT2_T3_T4_T5_mT6_T7_P12ihipStream_tbENKUlT_T0_E_clISt17integral_constantIbLb0EES15_EEDaS10_S11_EUlS10_E_NS1_11comp_targetILNS1_3genE8ELNS1_11target_archE1030ELNS1_3gpuE2ELNS1_3repE0EEENS1_30default_config_static_selectorELNS0_4arch9wavefront6targetE0EEEvT1_.num_vgpr, 37
	.set _ZN7rocprim17ROCPRIM_400000_NS6detail17trampoline_kernelINS0_14default_configENS1_27scan_by_key_config_selectorImiEEZZNS1_16scan_by_key_implILNS1_25lookback_scan_determinismE0ELb0ES3_N6thrust23THRUST_200600_302600_NS18transform_iteratorI9row_indexNS9_17counting_iteratorImNS9_11use_defaultESD_SD_EESD_SD_EENS9_6detail15normal_iteratorINS9_10device_ptrIiEEEESK_iNS9_4plusIvEENS9_8equal_toIvEEiEE10hipError_tPvRmT2_T3_T4_T5_mT6_T7_P12ihipStream_tbENKUlT_T0_E_clISt17integral_constantIbLb0EES15_EEDaS10_S11_EUlS10_E_NS1_11comp_targetILNS1_3genE8ELNS1_11target_archE1030ELNS1_3gpuE2ELNS1_3repE0EEENS1_30default_config_static_selectorELNS0_4arch9wavefront6targetE0EEEvT1_.num_agpr, 0
	.set _ZN7rocprim17ROCPRIM_400000_NS6detail17trampoline_kernelINS0_14default_configENS1_27scan_by_key_config_selectorImiEEZZNS1_16scan_by_key_implILNS1_25lookback_scan_determinismE0ELb0ES3_N6thrust23THRUST_200600_302600_NS18transform_iteratorI9row_indexNS9_17counting_iteratorImNS9_11use_defaultESD_SD_EESD_SD_EENS9_6detail15normal_iteratorINS9_10device_ptrIiEEEESK_iNS9_4plusIvEENS9_8equal_toIvEEiEE10hipError_tPvRmT2_T3_T4_T5_mT6_T7_P12ihipStream_tbENKUlT_T0_E_clISt17integral_constantIbLb0EES15_EEDaS10_S11_EUlS10_E_NS1_11comp_targetILNS1_3genE8ELNS1_11target_archE1030ELNS1_3gpuE2ELNS1_3repE0EEENS1_30default_config_static_selectorELNS0_4arch9wavefront6targetE0EEEvT1_.numbered_sgpr, 47
	.set _ZN7rocprim17ROCPRIM_400000_NS6detail17trampoline_kernelINS0_14default_configENS1_27scan_by_key_config_selectorImiEEZZNS1_16scan_by_key_implILNS1_25lookback_scan_determinismE0ELb0ES3_N6thrust23THRUST_200600_302600_NS18transform_iteratorI9row_indexNS9_17counting_iteratorImNS9_11use_defaultESD_SD_EESD_SD_EENS9_6detail15normal_iteratorINS9_10device_ptrIiEEEESK_iNS9_4plusIvEENS9_8equal_toIvEEiEE10hipError_tPvRmT2_T3_T4_T5_mT6_T7_P12ihipStream_tbENKUlT_T0_E_clISt17integral_constantIbLb0EES15_EEDaS10_S11_EUlS10_E_NS1_11comp_targetILNS1_3genE8ELNS1_11target_archE1030ELNS1_3gpuE2ELNS1_3repE0EEENS1_30default_config_static_selectorELNS0_4arch9wavefront6targetE0EEEvT1_.num_named_barrier, 0
	.set _ZN7rocprim17ROCPRIM_400000_NS6detail17trampoline_kernelINS0_14default_configENS1_27scan_by_key_config_selectorImiEEZZNS1_16scan_by_key_implILNS1_25lookback_scan_determinismE0ELb0ES3_N6thrust23THRUST_200600_302600_NS18transform_iteratorI9row_indexNS9_17counting_iteratorImNS9_11use_defaultESD_SD_EESD_SD_EENS9_6detail15normal_iteratorINS9_10device_ptrIiEEEESK_iNS9_4plusIvEENS9_8equal_toIvEEiEE10hipError_tPvRmT2_T3_T4_T5_mT6_T7_P12ihipStream_tbENKUlT_T0_E_clISt17integral_constantIbLb0EES15_EEDaS10_S11_EUlS10_E_NS1_11comp_targetILNS1_3genE8ELNS1_11target_archE1030ELNS1_3gpuE2ELNS1_3repE0EEENS1_30default_config_static_selectorELNS0_4arch9wavefront6targetE0EEEvT1_.private_seg_size, 0
	.set _ZN7rocprim17ROCPRIM_400000_NS6detail17trampoline_kernelINS0_14default_configENS1_27scan_by_key_config_selectorImiEEZZNS1_16scan_by_key_implILNS1_25lookback_scan_determinismE0ELb0ES3_N6thrust23THRUST_200600_302600_NS18transform_iteratorI9row_indexNS9_17counting_iteratorImNS9_11use_defaultESD_SD_EESD_SD_EENS9_6detail15normal_iteratorINS9_10device_ptrIiEEEESK_iNS9_4plusIvEENS9_8equal_toIvEEiEE10hipError_tPvRmT2_T3_T4_T5_mT6_T7_P12ihipStream_tbENKUlT_T0_E_clISt17integral_constantIbLb0EES15_EEDaS10_S11_EUlS10_E_NS1_11comp_targetILNS1_3genE8ELNS1_11target_archE1030ELNS1_3gpuE2ELNS1_3repE0EEENS1_30default_config_static_selectorELNS0_4arch9wavefront6targetE0EEEvT1_.uses_vcc, 1
	.set _ZN7rocprim17ROCPRIM_400000_NS6detail17trampoline_kernelINS0_14default_configENS1_27scan_by_key_config_selectorImiEEZZNS1_16scan_by_key_implILNS1_25lookback_scan_determinismE0ELb0ES3_N6thrust23THRUST_200600_302600_NS18transform_iteratorI9row_indexNS9_17counting_iteratorImNS9_11use_defaultESD_SD_EESD_SD_EENS9_6detail15normal_iteratorINS9_10device_ptrIiEEEESK_iNS9_4plusIvEENS9_8equal_toIvEEiEE10hipError_tPvRmT2_T3_T4_T5_mT6_T7_P12ihipStream_tbENKUlT_T0_E_clISt17integral_constantIbLb0EES15_EEDaS10_S11_EUlS10_E_NS1_11comp_targetILNS1_3genE8ELNS1_11target_archE1030ELNS1_3gpuE2ELNS1_3repE0EEENS1_30default_config_static_selectorELNS0_4arch9wavefront6targetE0EEEvT1_.uses_flat_scratch, 1
	.set _ZN7rocprim17ROCPRIM_400000_NS6detail17trampoline_kernelINS0_14default_configENS1_27scan_by_key_config_selectorImiEEZZNS1_16scan_by_key_implILNS1_25lookback_scan_determinismE0ELb0ES3_N6thrust23THRUST_200600_302600_NS18transform_iteratorI9row_indexNS9_17counting_iteratorImNS9_11use_defaultESD_SD_EESD_SD_EENS9_6detail15normal_iteratorINS9_10device_ptrIiEEEESK_iNS9_4plusIvEENS9_8equal_toIvEEiEE10hipError_tPvRmT2_T3_T4_T5_mT6_T7_P12ihipStream_tbENKUlT_T0_E_clISt17integral_constantIbLb0EES15_EEDaS10_S11_EUlS10_E_NS1_11comp_targetILNS1_3genE8ELNS1_11target_archE1030ELNS1_3gpuE2ELNS1_3repE0EEENS1_30default_config_static_selectorELNS0_4arch9wavefront6targetE0EEEvT1_.has_dyn_sized_stack, 0
	.set _ZN7rocprim17ROCPRIM_400000_NS6detail17trampoline_kernelINS0_14default_configENS1_27scan_by_key_config_selectorImiEEZZNS1_16scan_by_key_implILNS1_25lookback_scan_determinismE0ELb0ES3_N6thrust23THRUST_200600_302600_NS18transform_iteratorI9row_indexNS9_17counting_iteratorImNS9_11use_defaultESD_SD_EESD_SD_EENS9_6detail15normal_iteratorINS9_10device_ptrIiEEEESK_iNS9_4plusIvEENS9_8equal_toIvEEiEE10hipError_tPvRmT2_T3_T4_T5_mT6_T7_P12ihipStream_tbENKUlT_T0_E_clISt17integral_constantIbLb0EES15_EEDaS10_S11_EUlS10_E_NS1_11comp_targetILNS1_3genE8ELNS1_11target_archE1030ELNS1_3gpuE2ELNS1_3repE0EEENS1_30default_config_static_selectorELNS0_4arch9wavefront6targetE0EEEvT1_.has_recursion, 0
	.set _ZN7rocprim17ROCPRIM_400000_NS6detail17trampoline_kernelINS0_14default_configENS1_27scan_by_key_config_selectorImiEEZZNS1_16scan_by_key_implILNS1_25lookback_scan_determinismE0ELb0ES3_N6thrust23THRUST_200600_302600_NS18transform_iteratorI9row_indexNS9_17counting_iteratorImNS9_11use_defaultESD_SD_EESD_SD_EENS9_6detail15normal_iteratorINS9_10device_ptrIiEEEESK_iNS9_4plusIvEENS9_8equal_toIvEEiEE10hipError_tPvRmT2_T3_T4_T5_mT6_T7_P12ihipStream_tbENKUlT_T0_E_clISt17integral_constantIbLb0EES15_EEDaS10_S11_EUlS10_E_NS1_11comp_targetILNS1_3genE8ELNS1_11target_archE1030ELNS1_3gpuE2ELNS1_3repE0EEENS1_30default_config_static_selectorELNS0_4arch9wavefront6targetE0EEEvT1_.has_indirect_call, 0
	.section	.AMDGPU.csdata,"",@progbits
; Kernel info:
; codeLenInByte = 13952
; TotalNumSgprs: 49
; NumVgprs: 37
; ScratchSize: 0
; MemoryBound: 0
; FloatMode: 240
; IeeeMode: 1
; LDSByteSize: 10240 bytes/workgroup (compile time only)
; SGPRBlocks: 0
; VGPRBlocks: 4
; NumSGPRsForWavesPerEU: 49
; NumVGPRsForWavesPerEU: 37
; Occupancy: 16
; WaveLimiterHint : 1
; COMPUTE_PGM_RSRC2:SCRATCH_EN: 0
; COMPUTE_PGM_RSRC2:USER_SGPR: 6
; COMPUTE_PGM_RSRC2:TRAP_HANDLER: 0
; COMPUTE_PGM_RSRC2:TGID_X_EN: 1
; COMPUTE_PGM_RSRC2:TGID_Y_EN: 0
; COMPUTE_PGM_RSRC2:TGID_Z_EN: 0
; COMPUTE_PGM_RSRC2:TIDIG_COMP_CNT: 0
	.section	.text._ZN7rocprim17ROCPRIM_400000_NS6detail30init_device_scan_by_key_kernelINS1_19lookback_scan_stateINS0_5tupleIJibEEELb1ELb1EEEN6thrust23THRUST_200600_302600_NS18transform_iteratorI9row_indexNS8_17counting_iteratorImNS8_11use_defaultESC_SC_EESC_SC_EEjNS1_16block_id_wrapperIjLb1EEEEEvT_jjPNSH_10value_typeET0_PNSt15iterator_traitsISK_E10value_typeEmT1_T2_,"axG",@progbits,_ZN7rocprim17ROCPRIM_400000_NS6detail30init_device_scan_by_key_kernelINS1_19lookback_scan_stateINS0_5tupleIJibEEELb1ELb1EEEN6thrust23THRUST_200600_302600_NS18transform_iteratorI9row_indexNS8_17counting_iteratorImNS8_11use_defaultESC_SC_EESC_SC_EEjNS1_16block_id_wrapperIjLb1EEEEEvT_jjPNSH_10value_typeET0_PNSt15iterator_traitsISK_E10value_typeEmT1_T2_,comdat
	.protected	_ZN7rocprim17ROCPRIM_400000_NS6detail30init_device_scan_by_key_kernelINS1_19lookback_scan_stateINS0_5tupleIJibEEELb1ELb1EEEN6thrust23THRUST_200600_302600_NS18transform_iteratorI9row_indexNS8_17counting_iteratorImNS8_11use_defaultESC_SC_EESC_SC_EEjNS1_16block_id_wrapperIjLb1EEEEEvT_jjPNSH_10value_typeET0_PNSt15iterator_traitsISK_E10value_typeEmT1_T2_ ; -- Begin function _ZN7rocprim17ROCPRIM_400000_NS6detail30init_device_scan_by_key_kernelINS1_19lookback_scan_stateINS0_5tupleIJibEEELb1ELb1EEEN6thrust23THRUST_200600_302600_NS18transform_iteratorI9row_indexNS8_17counting_iteratorImNS8_11use_defaultESC_SC_EESC_SC_EEjNS1_16block_id_wrapperIjLb1EEEEEvT_jjPNSH_10value_typeET0_PNSt15iterator_traitsISK_E10value_typeEmT1_T2_
	.globl	_ZN7rocprim17ROCPRIM_400000_NS6detail30init_device_scan_by_key_kernelINS1_19lookback_scan_stateINS0_5tupleIJibEEELb1ELb1EEEN6thrust23THRUST_200600_302600_NS18transform_iteratorI9row_indexNS8_17counting_iteratorImNS8_11use_defaultESC_SC_EESC_SC_EEjNS1_16block_id_wrapperIjLb1EEEEEvT_jjPNSH_10value_typeET0_PNSt15iterator_traitsISK_E10value_typeEmT1_T2_
	.p2align	8
	.type	_ZN7rocprim17ROCPRIM_400000_NS6detail30init_device_scan_by_key_kernelINS1_19lookback_scan_stateINS0_5tupleIJibEEELb1ELb1EEEN6thrust23THRUST_200600_302600_NS18transform_iteratorI9row_indexNS8_17counting_iteratorImNS8_11use_defaultESC_SC_EESC_SC_EEjNS1_16block_id_wrapperIjLb1EEEEEvT_jjPNSH_10value_typeET0_PNSt15iterator_traitsISK_E10value_typeEmT1_T2_,@function
_ZN7rocprim17ROCPRIM_400000_NS6detail30init_device_scan_by_key_kernelINS1_19lookback_scan_stateINS0_5tupleIJibEEELb1ELb1EEEN6thrust23THRUST_200600_302600_NS18transform_iteratorI9row_indexNS8_17counting_iteratorImNS8_11use_defaultESC_SC_EESC_SC_EEjNS1_16block_id_wrapperIjLb1EEEEEvT_jjPNSH_10value_typeET0_PNSt15iterator_traitsISK_E10value_typeEmT1_T2_: ; @_ZN7rocprim17ROCPRIM_400000_NS6detail30init_device_scan_by_key_kernelINS1_19lookback_scan_stateINS0_5tupleIJibEEELb1ELb1EEEN6thrust23THRUST_200600_302600_NS18transform_iteratorI9row_indexNS8_17counting_iteratorImNS8_11use_defaultESC_SC_EESC_SC_EEjNS1_16block_id_wrapperIjLb1EEEEEvT_jjPNSH_10value_typeET0_PNSt15iterator_traitsISK_E10value_typeEmT1_T2_
; %bb.0:
	s_clause 0x2
	s_load_dword s0, s[4:5], 0x54
	s_load_dwordx8 s[8:15], s[4:5], 0x0
	s_load_dword s7, s[4:5], 0x48
	s_waitcnt lgkmcnt(0)
	s_and_b32 s16, s0, 0xffff
	s_cmp_eq_u64 s[12:13], 0
	v_mad_u64_u32 v[4:5], null, s6, s16, v[0:1]
	s_cbranch_scc1 .LBB12_10
; %bb.1:
	s_cmp_lt_u32 s11, s10
	s_mov_b32 s1, 0
	s_cselect_b32 s0, s11, 0
	s_mov_b32 s2, exec_lo
	v_cmpx_eq_u32_e64 s0, v4
	s_cbranch_execz .LBB12_9
; %bb.2:
	s_add_i32 s0, s11, 32
	v_mov_b32_e32 v6, 0
	s_lshl_b64 s[0:1], s[0:1], 4
	s_mov_b32 s3, exec_lo
	s_add_u32 s0, s8, s0
	s_addc_u32 s1, s9, s1
	v_mov_b32_e32 v0, s0
	v_mov_b32_e32 v1, s1
	;;#ASMSTART
	global_load_dwordx4 v[0:3], v[0:1] off glc dlc	
s_waitcnt vmcnt(0)
	;;#ASMEND
	v_and_b32_e32 v5, 0xff, v2
	v_cmpx_eq_u64_e32 0, v[5:6]
	s_cbranch_execz .LBB12_8
; %bb.3:
	v_mov_b32_e32 v8, s1
	v_mov_b32_e32 v7, s0
	s_mov_b32 s1, 1
	s_mov_b32 s0, 0
	.p2align	6
.LBB12_4:                               ; =>This Loop Header: Depth=1
                                        ;     Child Loop BB12_5 Depth 2
	s_mov_b32 s6, s1
.LBB12_5:                               ;   Parent Loop BB12_4 Depth=1
                                        ; =>  This Inner Loop Header: Depth=2
	s_add_i32 s6, s6, -1
	s_sleep 1
	s_cmp_eq_u32 s6, 0
	s_cbranch_scc0 .LBB12_5
; %bb.6:                                ;   in Loop: Header=BB12_4 Depth=1
	;;#ASMSTART
	global_load_dwordx4 v[0:3], v[7:8] off glc dlc	
s_waitcnt vmcnt(0)
	;;#ASMEND
	v_and_b32_e32 v5, 0xff, v2
	s_cmp_lt_u32 s1, 32
	s_cselect_b32 s6, -1, 0
	v_cmp_ne_u64_e32 vcc_lo, 0, v[5:6]
	s_cmp_lg_u32 s6, 0
	s_addc_u32 s1, s1, 0
	s_or_b32 s0, vcc_lo, s0
	s_andn2_b32 exec_lo, exec_lo, s0
	s_cbranch_execnz .LBB12_4
; %bb.7:
	s_or_b32 exec_lo, exec_lo, s0
.LBB12_8:
	s_or_b32 exec_lo, exec_lo, s3
	v_mov_b32_e32 v2, 0
	global_store_dword v2, v0, s[12:13]
	global_store_byte v2, v1, s[12:13] offset:4
.LBB12_9:
	s_or_b32 exec_lo, exec_lo, s2
.LBB12_10:
	s_mov_b32 s0, exec_lo
	v_cmpx_eq_u32_e32 0, v4
	s_cbranch_execz .LBB12_12
; %bb.11:
	s_load_dwordx2 s[2:3], s[4:5], 0x40
	v_mov_b32_e32 v0, 0
	s_waitcnt lgkmcnt(0)
	global_store_dword v0, v0, s[2:3]
.LBB12_12:
	s_or_b32 exec_lo, exec_lo, s0
	s_mov_b32 s0, exec_lo
	v_cmpx_gt_u32_e64 s10, v4
	s_cbranch_execz .LBB12_14
; %bb.13:
	v_add_nc_u32_e32 v0, 32, v4
	v_mov_b32_e32 v1, 0
	v_lshlrev_b64 v[5:6], 4, v[0:1]
	v_mov_b32_e32 v0, v1
	v_mov_b32_e32 v2, v1
	;; [unrolled: 1-line block ×3, first 2 shown]
	v_add_co_u32 v5, vcc_lo, s8, v5
	v_add_co_ci_u32_e64 v6, null, s9, v6, vcc_lo
	global_store_dwordx4 v[5:6], v[0:3], off
.LBB12_14:
	s_or_b32 exec_lo, exec_lo, s0
	v_mov_b32_e32 v5, 0
	s_mov_b32 s0, exec_lo
	v_cmpx_gt_u32_e32 32, v4
	s_cbranch_execz .LBB12_16
; %bb.15:
	v_lshlrev_b64 v[6:7], 4, v[4:5]
	v_mov_b32_e32 v2, 0xff
	v_mov_b32_e32 v0, v5
	;; [unrolled: 1-line block ×4, first 2 shown]
	v_add_co_u32 v6, vcc_lo, s8, v6
	v_add_co_ci_u32_e64 v7, null, s9, v7, vcc_lo
	global_store_dwordx4 v[6:7], v[0:3], off
.LBB12_16:
	s_or_b32 exec_lo, exec_lo, s0
	s_load_dwordx2 s[2:3], s[4:5], 0x30
	s_mov_b32 s0, exec_lo
	s_waitcnt lgkmcnt(0)
	v_cmpx_gt_u64_e64 s[2:3], v[4:5]
	s_cbranch_execz .LBB12_23
; %bb.17:
	s_clause 0x1
	s_load_dwordx4 s[8:11], s[4:5], 0x20
	s_load_dword s6, s[4:5], 0x38
	s_mov_b32 s5, 0
	s_waitcnt lgkmcnt(0)
	v_cvt_f32_u32_e32 v0, s8
	v_cvt_f32_u32_e32 v1, s9
	;; [unrolled: 1-line block ×3, first 2 shown]
	s_add_i32 s0, s6, -1
	s_add_u32 s0, s0, s14
	v_fmamk_f32 v0, v1, 0x4f800000, v0
	v_rcp_iflag_f32_e32 v1, v2
	s_addc_u32 s1, 0, s15
	s_sub_i32 s4, 0, s8
	v_lshlrev_b64 v[2:3], 3, v[4:5]
	v_rcp_f32_e32 v0, v0
	v_add_co_u32 v2, vcc_lo, s10, v2
	v_mul_f32_e32 v1, 0x4f7ffffe, v1
	v_add_co_ci_u32_e64 v3, null, s11, v3, vcc_lo
	v_mul_f32_e32 v6, 0x5f7ffffc, v0
	v_cvt_u32_f32_e32 v1, v1
	v_mul_f32_e32 v0, 0x2f800000, v6
	v_mul_lo_u32 v7, s4, v1
	s_mul_i32 s4, s7, s16
	v_trunc_f32_e32 v8, v0
	v_mov_b32_e32 v0, 0
	s_mul_i32 s10, s6, s4
	v_mul_hi_u32 v9, v1, v7
	v_fmamk_f32 v10, v8, 0xcf800000, v6
	v_mad_u64_u32 v[6:7], null, s6, v4, s[0:1]
	v_cvt_u32_f32_e32 v11, v8
	s_mul_hi_u32 s1, s6, s4
	v_cvt_u32_f32_e32 v10, v10
	s_lshl_b64 s[6:7], s[4:5], 3
	v_add_nc_u32_e32 v12, v1, v9
	s_branch .LBB12_19
.LBB12_18:                              ;   in Loop: Header=BB12_19 Depth=1
	s_or_b32 exec_lo, exec_lo, s0
	v_add_co_u32 v4, vcc_lo, v4, s4
	v_add_co_ci_u32_e64 v5, null, 0, v5, vcc_lo
	v_add_co_u32 v6, vcc_lo, v6, s10
	v_add_co_ci_u32_e64 v7, null, s1, v7, vcc_lo
	v_cmp_le_u64_e32 vcc_lo, s[2:3], v[4:5]
	global_store_dwordx2 v[2:3], v[8:9], off
	v_add_co_u32 v2, s0, v2, s6
	v_add_co_ci_u32_e64 v3, null, s7, v3, s0
	s_or_b32 s5, vcc_lo, s5
	s_andn2_b32 exec_lo, exec_lo, s5
	s_cbranch_execz .LBB12_23
.LBB12_19:                              ; =>This Inner Loop Header: Depth=1
	v_or_b32_e32 v1, s9, v7
                                        ; implicit-def: $vgpr8_vgpr9
	s_mov_b32 s0, exec_lo
	v_cmpx_ne_u64_e32 0, v[0:1]
	s_xor_b32 s11, exec_lo, s0
	s_cbranch_execz .LBB12_21
; %bb.20:                               ;   in Loop: Header=BB12_19 Depth=1
	v_readfirstlane_b32 s0, v10
	v_readfirstlane_b32 s12, v11
	s_sub_u32 s13, 0, s8
	s_subb_u32 s14, 0, s9
	s_mul_hi_u32 s15, s13, s0
	s_mul_i32 s16, s13, s12
	s_mul_i32 s17, s14, s0
	s_add_i32 s15, s15, s16
	s_mul_i32 s16, s13, s0
	s_add_i32 s15, s15, s17
	s_mul_hi_u32 s17, s0, s16
	s_mul_i32 s18, s0, s15
	s_mul_hi_u32 s19, s0, s15
	s_add_u32 s17, s17, s18
	s_mul_i32 s20, s12, s16
	s_addc_u32 s18, 0, s19
	s_mul_hi_u32 s16, s12, s16
	s_mul_hi_u32 s19, s12, s15
	s_add_u32 s17, s17, s20
	s_addc_u32 s16, s18, s16
	s_mul_i32 s15, s12, s15
	s_addc_u32 s17, s19, 0
	s_add_u32 s15, s16, s15
	s_addc_u32 s16, 0, s17
	s_add_u32 s0, s0, s15
	s_cselect_b32 s15, -1, 0
	s_mul_i32 s14, s14, s0
	s_cmp_lg_u32 s15, 0
	s_addc_u32 s12, s12, s16
	s_mul_hi_u32 s16, s13, s0
	s_mul_i32 s15, s13, s12
	s_mul_i32 s13, s13, s0
	s_add_i32 s15, s16, s15
	s_mul_hi_u32 s16, s12, s13
	s_add_i32 s15, s15, s14
	s_mul_i32 s17, s12, s13
	s_mul_i32 s18, s0, s15
	s_mul_hi_u32 s13, s0, s13
	s_mul_hi_u32 s19, s0, s15
	s_add_u32 s13, s13, s18
	s_addc_u32 s18, 0, s19
	s_mul_hi_u32 s14, s12, s15
	s_add_u32 s13, s13, s17
	s_addc_u32 s13, s18, s16
	s_mul_i32 s15, s12, s15
	s_addc_u32 s14, s14, 0
	s_add_u32 s13, s13, s15
	s_addc_u32 s14, 0, s14
	s_add_u32 s0, s0, s13
	s_cselect_b32 s13, -1, 0
	v_mul_hi_u32 v1, v6, s0
	s_cmp_lg_u32 s13, 0
	v_mad_u64_u32 v[13:14], null, v7, s0, 0
	s_addc_u32 s12, s12, s14
	v_mad_u64_u32 v[8:9], null, v6, s12, 0
	v_add_co_u32 v1, vcc_lo, v1, v8
	v_add_co_ci_u32_e64 v15, null, 0, v9, vcc_lo
	v_mad_u64_u32 v[8:9], null, v7, s12, 0
	v_add_co_u32 v1, vcc_lo, v1, v13
	v_add_co_ci_u32_e32 v1, vcc_lo, v15, v14, vcc_lo
	v_add_co_ci_u32_e32 v9, vcc_lo, 0, v9, vcc_lo
	v_add_co_u32 v1, vcc_lo, v1, v8
	v_add_co_ci_u32_e64 v13, null, 0, v9, vcc_lo
	v_mul_lo_u32 v14, s9, v1
	v_mad_u64_u32 v[8:9], null, s8, v1, 0
	v_mul_lo_u32 v15, s8, v13
	v_sub_co_u32 v8, vcc_lo, v6, v8
	v_add3_u32 v9, v9, v15, v14
	v_add_co_u32 v15, s0, v1, 2
	v_add_co_ci_u32_e64 v16, null, 0, v13, s0
	v_sub_nc_u32_e32 v14, v7, v9
	v_sub_co_u32 v17, s0, v8, s8
	v_sub_co_ci_u32_e64 v9, null, v7, v9, vcc_lo
	v_subrev_co_ci_u32_e64 v14, null, s9, v14, vcc_lo
	v_cmp_le_u32_e32 vcc_lo, s8, v17
	v_subrev_co_ci_u32_e64 v14, null, 0, v14, s0
	v_cndmask_b32_e64 v17, 0, -1, vcc_lo
	v_cmp_eq_u32_e64 s0, s9, v9
	v_cmp_le_u32_e32 vcc_lo, s9, v14
	v_cndmask_b32_e64 v18, 0, -1, vcc_lo
	v_cmp_le_u32_e32 vcc_lo, s8, v8
	v_cndmask_b32_e64 v8, 0, -1, vcc_lo
	;; [unrolled: 2-line block ×3, first 2 shown]
	v_cmp_eq_u32_e32 vcc_lo, s9, v14
	v_cndmask_b32_e64 v8, v19, v8, s0
	v_cndmask_b32_e32 v14, v18, v17, vcc_lo
	v_add_co_u32 v17, vcc_lo, v1, 1
	v_add_co_ci_u32_e64 v18, null, 0, v13, vcc_lo
	v_cmp_ne_u32_e32 vcc_lo, 0, v14
	v_cndmask_b32_e32 v9, v18, v16, vcc_lo
	v_cndmask_b32_e32 v14, v17, v15, vcc_lo
	v_cmp_ne_u32_e32 vcc_lo, 0, v8
	v_cndmask_b32_e32 v9, v13, v9, vcc_lo
	v_cndmask_b32_e32 v8, v1, v14, vcc_lo
.LBB12_21:                              ;   in Loop: Header=BB12_19 Depth=1
	s_andn2_saveexec_b32 s0, s11
	s_cbranch_execz .LBB12_18
; %bb.22:                               ;   in Loop: Header=BB12_19 Depth=1
	v_mul_hi_u32 v1, v6, v12
	v_mul_lo_u32 v8, v1, s8
	v_add_nc_u32_e32 v9, 1, v1
	v_sub_nc_u32_e32 v8, v6, v8
	v_subrev_nc_u32_e32 v13, s8, v8
	v_cmp_le_u32_e32 vcc_lo, s8, v8
	v_cndmask_b32_e32 v8, v8, v13, vcc_lo
	v_cndmask_b32_e32 v1, v1, v9, vcc_lo
	v_cmp_le_u32_e32 vcc_lo, s8, v8
	v_add_nc_u32_e32 v9, 1, v1
	v_cndmask_b32_e32 v8, v1, v9, vcc_lo
	v_mov_b32_e32 v9, v0
	s_branch .LBB12_18
.LBB12_23:
	s_endpgm
	.section	.rodata,"a",@progbits
	.p2align	6, 0x0
	.amdhsa_kernel _ZN7rocprim17ROCPRIM_400000_NS6detail30init_device_scan_by_key_kernelINS1_19lookback_scan_stateINS0_5tupleIJibEEELb1ELb1EEEN6thrust23THRUST_200600_302600_NS18transform_iteratorI9row_indexNS8_17counting_iteratorImNS8_11use_defaultESC_SC_EESC_SC_EEjNS1_16block_id_wrapperIjLb1EEEEEvT_jjPNSH_10value_typeET0_PNSt15iterator_traitsISK_E10value_typeEmT1_T2_
		.amdhsa_group_segment_fixed_size 0
		.amdhsa_private_segment_fixed_size 0
		.amdhsa_kernarg_size 328
		.amdhsa_user_sgpr_count 6
		.amdhsa_user_sgpr_private_segment_buffer 1
		.amdhsa_user_sgpr_dispatch_ptr 0
		.amdhsa_user_sgpr_queue_ptr 0
		.amdhsa_user_sgpr_kernarg_segment_ptr 1
		.amdhsa_user_sgpr_dispatch_id 0
		.amdhsa_user_sgpr_flat_scratch_init 0
		.amdhsa_user_sgpr_private_segment_size 0
		.amdhsa_wavefront_size32 1
		.amdhsa_uses_dynamic_stack 0
		.amdhsa_system_sgpr_private_segment_wavefront_offset 0
		.amdhsa_system_sgpr_workgroup_id_x 1
		.amdhsa_system_sgpr_workgroup_id_y 0
		.amdhsa_system_sgpr_workgroup_id_z 0
		.amdhsa_system_sgpr_workgroup_info 0
		.amdhsa_system_vgpr_workitem_id 0
		.amdhsa_next_free_vgpr 20
		.amdhsa_next_free_sgpr 21
		.amdhsa_reserve_vcc 1
		.amdhsa_reserve_flat_scratch 0
		.amdhsa_float_round_mode_32 0
		.amdhsa_float_round_mode_16_64 0
		.amdhsa_float_denorm_mode_32 3
		.amdhsa_float_denorm_mode_16_64 3
		.amdhsa_dx10_clamp 1
		.amdhsa_ieee_mode 1
		.amdhsa_fp16_overflow 0
		.amdhsa_workgroup_processor_mode 1
		.amdhsa_memory_ordered 1
		.amdhsa_forward_progress 1
		.amdhsa_shared_vgpr_count 0
		.amdhsa_exception_fp_ieee_invalid_op 0
		.amdhsa_exception_fp_denorm_src 0
		.amdhsa_exception_fp_ieee_div_zero 0
		.amdhsa_exception_fp_ieee_overflow 0
		.amdhsa_exception_fp_ieee_underflow 0
		.amdhsa_exception_fp_ieee_inexact 0
		.amdhsa_exception_int_div_zero 0
	.end_amdhsa_kernel
	.section	.text._ZN7rocprim17ROCPRIM_400000_NS6detail30init_device_scan_by_key_kernelINS1_19lookback_scan_stateINS0_5tupleIJibEEELb1ELb1EEEN6thrust23THRUST_200600_302600_NS18transform_iteratorI9row_indexNS8_17counting_iteratorImNS8_11use_defaultESC_SC_EESC_SC_EEjNS1_16block_id_wrapperIjLb1EEEEEvT_jjPNSH_10value_typeET0_PNSt15iterator_traitsISK_E10value_typeEmT1_T2_,"axG",@progbits,_ZN7rocprim17ROCPRIM_400000_NS6detail30init_device_scan_by_key_kernelINS1_19lookback_scan_stateINS0_5tupleIJibEEELb1ELb1EEEN6thrust23THRUST_200600_302600_NS18transform_iteratorI9row_indexNS8_17counting_iteratorImNS8_11use_defaultESC_SC_EESC_SC_EEjNS1_16block_id_wrapperIjLb1EEEEEvT_jjPNSH_10value_typeET0_PNSt15iterator_traitsISK_E10value_typeEmT1_T2_,comdat
.Lfunc_end12:
	.size	_ZN7rocprim17ROCPRIM_400000_NS6detail30init_device_scan_by_key_kernelINS1_19lookback_scan_stateINS0_5tupleIJibEEELb1ELb1EEEN6thrust23THRUST_200600_302600_NS18transform_iteratorI9row_indexNS8_17counting_iteratorImNS8_11use_defaultESC_SC_EESC_SC_EEjNS1_16block_id_wrapperIjLb1EEEEEvT_jjPNSH_10value_typeET0_PNSt15iterator_traitsISK_E10value_typeEmT1_T2_, .Lfunc_end12-_ZN7rocprim17ROCPRIM_400000_NS6detail30init_device_scan_by_key_kernelINS1_19lookback_scan_stateINS0_5tupleIJibEEELb1ELb1EEEN6thrust23THRUST_200600_302600_NS18transform_iteratorI9row_indexNS8_17counting_iteratorImNS8_11use_defaultESC_SC_EESC_SC_EEjNS1_16block_id_wrapperIjLb1EEEEEvT_jjPNSH_10value_typeET0_PNSt15iterator_traitsISK_E10value_typeEmT1_T2_
                                        ; -- End function
	.set _ZN7rocprim17ROCPRIM_400000_NS6detail30init_device_scan_by_key_kernelINS1_19lookback_scan_stateINS0_5tupleIJibEEELb1ELb1EEEN6thrust23THRUST_200600_302600_NS18transform_iteratorI9row_indexNS8_17counting_iteratorImNS8_11use_defaultESC_SC_EESC_SC_EEjNS1_16block_id_wrapperIjLb1EEEEEvT_jjPNSH_10value_typeET0_PNSt15iterator_traitsISK_E10value_typeEmT1_T2_.num_vgpr, 20
	.set _ZN7rocprim17ROCPRIM_400000_NS6detail30init_device_scan_by_key_kernelINS1_19lookback_scan_stateINS0_5tupleIJibEEELb1ELb1EEEN6thrust23THRUST_200600_302600_NS18transform_iteratorI9row_indexNS8_17counting_iteratorImNS8_11use_defaultESC_SC_EESC_SC_EEjNS1_16block_id_wrapperIjLb1EEEEEvT_jjPNSH_10value_typeET0_PNSt15iterator_traitsISK_E10value_typeEmT1_T2_.num_agpr, 0
	.set _ZN7rocprim17ROCPRIM_400000_NS6detail30init_device_scan_by_key_kernelINS1_19lookback_scan_stateINS0_5tupleIJibEEELb1ELb1EEEN6thrust23THRUST_200600_302600_NS18transform_iteratorI9row_indexNS8_17counting_iteratorImNS8_11use_defaultESC_SC_EESC_SC_EEjNS1_16block_id_wrapperIjLb1EEEEEvT_jjPNSH_10value_typeET0_PNSt15iterator_traitsISK_E10value_typeEmT1_T2_.numbered_sgpr, 21
	.set _ZN7rocprim17ROCPRIM_400000_NS6detail30init_device_scan_by_key_kernelINS1_19lookback_scan_stateINS0_5tupleIJibEEELb1ELb1EEEN6thrust23THRUST_200600_302600_NS18transform_iteratorI9row_indexNS8_17counting_iteratorImNS8_11use_defaultESC_SC_EESC_SC_EEjNS1_16block_id_wrapperIjLb1EEEEEvT_jjPNSH_10value_typeET0_PNSt15iterator_traitsISK_E10value_typeEmT1_T2_.num_named_barrier, 0
	.set _ZN7rocprim17ROCPRIM_400000_NS6detail30init_device_scan_by_key_kernelINS1_19lookback_scan_stateINS0_5tupleIJibEEELb1ELb1EEEN6thrust23THRUST_200600_302600_NS18transform_iteratorI9row_indexNS8_17counting_iteratorImNS8_11use_defaultESC_SC_EESC_SC_EEjNS1_16block_id_wrapperIjLb1EEEEEvT_jjPNSH_10value_typeET0_PNSt15iterator_traitsISK_E10value_typeEmT1_T2_.private_seg_size, 0
	.set _ZN7rocprim17ROCPRIM_400000_NS6detail30init_device_scan_by_key_kernelINS1_19lookback_scan_stateINS0_5tupleIJibEEELb1ELb1EEEN6thrust23THRUST_200600_302600_NS18transform_iteratorI9row_indexNS8_17counting_iteratorImNS8_11use_defaultESC_SC_EESC_SC_EEjNS1_16block_id_wrapperIjLb1EEEEEvT_jjPNSH_10value_typeET0_PNSt15iterator_traitsISK_E10value_typeEmT1_T2_.uses_vcc, 1
	.set _ZN7rocprim17ROCPRIM_400000_NS6detail30init_device_scan_by_key_kernelINS1_19lookback_scan_stateINS0_5tupleIJibEEELb1ELb1EEEN6thrust23THRUST_200600_302600_NS18transform_iteratorI9row_indexNS8_17counting_iteratorImNS8_11use_defaultESC_SC_EESC_SC_EEjNS1_16block_id_wrapperIjLb1EEEEEvT_jjPNSH_10value_typeET0_PNSt15iterator_traitsISK_E10value_typeEmT1_T2_.uses_flat_scratch, 0
	.set _ZN7rocprim17ROCPRIM_400000_NS6detail30init_device_scan_by_key_kernelINS1_19lookback_scan_stateINS0_5tupleIJibEEELb1ELb1EEEN6thrust23THRUST_200600_302600_NS18transform_iteratorI9row_indexNS8_17counting_iteratorImNS8_11use_defaultESC_SC_EESC_SC_EEjNS1_16block_id_wrapperIjLb1EEEEEvT_jjPNSH_10value_typeET0_PNSt15iterator_traitsISK_E10value_typeEmT1_T2_.has_dyn_sized_stack, 0
	.set _ZN7rocprim17ROCPRIM_400000_NS6detail30init_device_scan_by_key_kernelINS1_19lookback_scan_stateINS0_5tupleIJibEEELb1ELb1EEEN6thrust23THRUST_200600_302600_NS18transform_iteratorI9row_indexNS8_17counting_iteratorImNS8_11use_defaultESC_SC_EESC_SC_EEjNS1_16block_id_wrapperIjLb1EEEEEvT_jjPNSH_10value_typeET0_PNSt15iterator_traitsISK_E10value_typeEmT1_T2_.has_recursion, 0
	.set _ZN7rocprim17ROCPRIM_400000_NS6detail30init_device_scan_by_key_kernelINS1_19lookback_scan_stateINS0_5tupleIJibEEELb1ELb1EEEN6thrust23THRUST_200600_302600_NS18transform_iteratorI9row_indexNS8_17counting_iteratorImNS8_11use_defaultESC_SC_EESC_SC_EEjNS1_16block_id_wrapperIjLb1EEEEEvT_jjPNSH_10value_typeET0_PNSt15iterator_traitsISK_E10value_typeEmT1_T2_.has_indirect_call, 0
	.section	.AMDGPU.csdata,"",@progbits
; Kernel info:
; codeLenInByte = 1392
; TotalNumSgprs: 23
; NumVgprs: 20
; ScratchSize: 0
; MemoryBound: 0
; FloatMode: 240
; IeeeMode: 1
; LDSByteSize: 0 bytes/workgroup (compile time only)
; SGPRBlocks: 0
; VGPRBlocks: 2
; NumSGPRsForWavesPerEU: 23
; NumVGPRsForWavesPerEU: 20
; Occupancy: 16
; WaveLimiterHint : 0
; COMPUTE_PGM_RSRC2:SCRATCH_EN: 0
; COMPUTE_PGM_RSRC2:USER_SGPR: 6
; COMPUTE_PGM_RSRC2:TRAP_HANDLER: 0
; COMPUTE_PGM_RSRC2:TGID_X_EN: 1
; COMPUTE_PGM_RSRC2:TGID_Y_EN: 0
; COMPUTE_PGM_RSRC2:TGID_Z_EN: 0
; COMPUTE_PGM_RSRC2:TIDIG_COMP_CNT: 0
	.section	.text._ZN7rocprim17ROCPRIM_400000_NS6detail30init_device_scan_by_key_kernelINS1_19lookback_scan_stateINS0_5tupleIJibEEELb1ELb1EEENS1_16block_id_wrapperIjLb1EEEEEvT_jjPNS9_10value_typeET0_,"axG",@progbits,_ZN7rocprim17ROCPRIM_400000_NS6detail30init_device_scan_by_key_kernelINS1_19lookback_scan_stateINS0_5tupleIJibEEELb1ELb1EEENS1_16block_id_wrapperIjLb1EEEEEvT_jjPNS9_10value_typeET0_,comdat
	.protected	_ZN7rocprim17ROCPRIM_400000_NS6detail30init_device_scan_by_key_kernelINS1_19lookback_scan_stateINS0_5tupleIJibEEELb1ELb1EEENS1_16block_id_wrapperIjLb1EEEEEvT_jjPNS9_10value_typeET0_ ; -- Begin function _ZN7rocprim17ROCPRIM_400000_NS6detail30init_device_scan_by_key_kernelINS1_19lookback_scan_stateINS0_5tupleIJibEEELb1ELb1EEENS1_16block_id_wrapperIjLb1EEEEEvT_jjPNS9_10value_typeET0_
	.globl	_ZN7rocprim17ROCPRIM_400000_NS6detail30init_device_scan_by_key_kernelINS1_19lookback_scan_stateINS0_5tupleIJibEEELb1ELb1EEENS1_16block_id_wrapperIjLb1EEEEEvT_jjPNS9_10value_typeET0_
	.p2align	8
	.type	_ZN7rocprim17ROCPRIM_400000_NS6detail30init_device_scan_by_key_kernelINS1_19lookback_scan_stateINS0_5tupleIJibEEELb1ELb1EEENS1_16block_id_wrapperIjLb1EEEEEvT_jjPNS9_10value_typeET0_,@function
_ZN7rocprim17ROCPRIM_400000_NS6detail30init_device_scan_by_key_kernelINS1_19lookback_scan_stateINS0_5tupleIJibEEELb1ELb1EEENS1_16block_id_wrapperIjLb1EEEEEvT_jjPNS9_10value_typeET0_: ; @_ZN7rocprim17ROCPRIM_400000_NS6detail30init_device_scan_by_key_kernelINS1_19lookback_scan_stateINS0_5tupleIJibEEELb1ELb1EEENS1_16block_id_wrapperIjLb1EEEEEvT_jjPNS9_10value_typeET0_
; %bb.0:
	s_clause 0x1
	s_load_dword s0, s[4:5], 0x2c
	s_load_dwordx8 s[8:15], s[4:5], 0x0
	s_waitcnt lgkmcnt(0)
	s_and_b32 s0, s0, 0xffff
	s_cmp_eq_u64 s[12:13], 0
	v_mad_u64_u32 v[0:1], null, s6, s0, v[0:1]
	s_cbranch_scc1 .LBB13_10
; %bb.1:
	s_cmp_lt_u32 s11, s10
	s_mov_b32 s1, 0
	s_cselect_b32 s0, s11, 0
	s_mov_b32 s2, exec_lo
	v_cmpx_eq_u32_e64 s0, v0
	s_cbranch_execz .LBB13_9
; %bb.2:
	s_add_i32 s0, s11, 32
	v_mov_b32_e32 v5, 0
	s_lshl_b64 s[0:1], s[0:1], 4
	s_mov_b32 s3, exec_lo
	s_add_u32 s0, s8, s0
	s_addc_u32 s1, s9, s1
	v_mov_b32_e32 v2, s1
	v_mov_b32_e32 v1, s0
	;;#ASMSTART
	global_load_dwordx4 v[1:4], v[1:2] off glc dlc	
s_waitcnt vmcnt(0)
	;;#ASMEND
	v_and_b32_e32 v4, 0xff, v3
	v_cmpx_eq_u64_e32 0, v[4:5]
	s_cbranch_execz .LBB13_8
; %bb.3:
	v_mov_b32_e32 v7, s1
	v_mov_b32_e32 v6, s0
	s_mov_b32 s1, 1
	s_mov_b32 s0, 0
	.p2align	6
.LBB13_4:                               ; =>This Loop Header: Depth=1
                                        ;     Child Loop BB13_5 Depth 2
	s_mov_b32 s4, s1
.LBB13_5:                               ;   Parent Loop BB13_4 Depth=1
                                        ; =>  This Inner Loop Header: Depth=2
	s_add_i32 s4, s4, -1
	s_sleep 1
	s_cmp_eq_u32 s4, 0
	s_cbranch_scc0 .LBB13_5
; %bb.6:                                ;   in Loop: Header=BB13_4 Depth=1
	;;#ASMSTART
	global_load_dwordx4 v[1:4], v[6:7] off glc dlc	
s_waitcnt vmcnt(0)
	;;#ASMEND
	v_and_b32_e32 v4, 0xff, v3
	s_cmp_lt_u32 s1, 32
	s_cselect_b32 s4, -1, 0
	s_cmp_lg_u32 s4, 0
	v_cmp_ne_u64_e32 vcc_lo, 0, v[4:5]
	s_addc_u32 s1, s1, 0
	s_or_b32 s0, vcc_lo, s0
	s_andn2_b32 exec_lo, exec_lo, s0
	s_cbranch_execnz .LBB13_4
; %bb.7:
	s_or_b32 exec_lo, exec_lo, s0
.LBB13_8:
	s_or_b32 exec_lo, exec_lo, s3
	v_mov_b32_e32 v3, 0
	global_store_dword v3, v1, s[12:13]
	global_store_byte v3, v2, s[12:13] offset:4
.LBB13_9:
	s_or_b32 exec_lo, exec_lo, s2
.LBB13_10:
	s_mov_b32 s0, exec_lo
	v_cmpx_eq_u32_e32 0, v0
	s_cbranch_execz .LBB13_12
; %bb.11:
	v_mov_b32_e32 v1, 0
	global_store_dword v1, v1, s[14:15]
.LBB13_12:
	s_or_b32 exec_lo, exec_lo, s0
	s_mov_b32 s0, exec_lo
	v_cmpx_gt_u32_e64 s10, v0
	s_cbranch_execz .LBB13_14
; %bb.13:
	v_add_nc_u32_e32 v1, 32, v0
	v_mov_b32_e32 v2, 0
	v_lshlrev_b64 v[4:5], 4, v[1:2]
	v_mov_b32_e32 v1, v2
	v_mov_b32_e32 v3, v2
	v_add_co_u32 v6, vcc_lo, s8, v4
	v_add_co_ci_u32_e64 v7, null, s9, v5, vcc_lo
	v_mov_b32_e32 v4, v2
	global_store_dwordx4 v[6:7], v[1:4], off
.LBB13_14:
	s_or_b32 exec_lo, exec_lo, s0
	s_mov_b32 s0, exec_lo
	v_cmpx_gt_u32_e32 32, v0
	s_cbranch_execz .LBB13_16
; %bb.15:
	v_mov_b32_e32 v1, 0
	v_mov_b32_e32 v2, 0xff
	v_lshlrev_b64 v[3:4], 4, v[0:1]
	v_mov_b32_e32 v0, v1
	v_add_co_u32 v5, vcc_lo, s8, v3
	v_add_co_ci_u32_e64 v6, null, s9, v4, vcc_lo
	v_mov_b32_e32 v3, v1
	global_store_dwordx4 v[5:6], v[0:3], off
.LBB13_16:
	s_endpgm
	.section	.rodata,"a",@progbits
	.p2align	6, 0x0
	.amdhsa_kernel _ZN7rocprim17ROCPRIM_400000_NS6detail30init_device_scan_by_key_kernelINS1_19lookback_scan_stateINS0_5tupleIJibEEELb1ELb1EEENS1_16block_id_wrapperIjLb1EEEEEvT_jjPNS9_10value_typeET0_
		.amdhsa_group_segment_fixed_size 0
		.amdhsa_private_segment_fixed_size 0
		.amdhsa_kernarg_size 288
		.amdhsa_user_sgpr_count 6
		.amdhsa_user_sgpr_private_segment_buffer 1
		.amdhsa_user_sgpr_dispatch_ptr 0
		.amdhsa_user_sgpr_queue_ptr 0
		.amdhsa_user_sgpr_kernarg_segment_ptr 1
		.amdhsa_user_sgpr_dispatch_id 0
		.amdhsa_user_sgpr_flat_scratch_init 0
		.amdhsa_user_sgpr_private_segment_size 0
		.amdhsa_wavefront_size32 1
		.amdhsa_uses_dynamic_stack 0
		.amdhsa_system_sgpr_private_segment_wavefront_offset 0
		.amdhsa_system_sgpr_workgroup_id_x 1
		.amdhsa_system_sgpr_workgroup_id_y 0
		.amdhsa_system_sgpr_workgroup_id_z 0
		.amdhsa_system_sgpr_workgroup_info 0
		.amdhsa_system_vgpr_workitem_id 0
		.amdhsa_next_free_vgpr 8
		.amdhsa_next_free_sgpr 16
		.amdhsa_reserve_vcc 1
		.amdhsa_reserve_flat_scratch 0
		.amdhsa_float_round_mode_32 0
		.amdhsa_float_round_mode_16_64 0
		.amdhsa_float_denorm_mode_32 3
		.amdhsa_float_denorm_mode_16_64 3
		.amdhsa_dx10_clamp 1
		.amdhsa_ieee_mode 1
		.amdhsa_fp16_overflow 0
		.amdhsa_workgroup_processor_mode 1
		.amdhsa_memory_ordered 1
		.amdhsa_forward_progress 1
		.amdhsa_shared_vgpr_count 0
		.amdhsa_exception_fp_ieee_invalid_op 0
		.amdhsa_exception_fp_denorm_src 0
		.amdhsa_exception_fp_ieee_div_zero 0
		.amdhsa_exception_fp_ieee_overflow 0
		.amdhsa_exception_fp_ieee_underflow 0
		.amdhsa_exception_fp_ieee_inexact 0
		.amdhsa_exception_int_div_zero 0
	.end_amdhsa_kernel
	.section	.text._ZN7rocprim17ROCPRIM_400000_NS6detail30init_device_scan_by_key_kernelINS1_19lookback_scan_stateINS0_5tupleIJibEEELb1ELb1EEENS1_16block_id_wrapperIjLb1EEEEEvT_jjPNS9_10value_typeET0_,"axG",@progbits,_ZN7rocprim17ROCPRIM_400000_NS6detail30init_device_scan_by_key_kernelINS1_19lookback_scan_stateINS0_5tupleIJibEEELb1ELb1EEENS1_16block_id_wrapperIjLb1EEEEEvT_jjPNS9_10value_typeET0_,comdat
.Lfunc_end13:
	.size	_ZN7rocprim17ROCPRIM_400000_NS6detail30init_device_scan_by_key_kernelINS1_19lookback_scan_stateINS0_5tupleIJibEEELb1ELb1EEENS1_16block_id_wrapperIjLb1EEEEEvT_jjPNS9_10value_typeET0_, .Lfunc_end13-_ZN7rocprim17ROCPRIM_400000_NS6detail30init_device_scan_by_key_kernelINS1_19lookback_scan_stateINS0_5tupleIJibEEELb1ELb1EEENS1_16block_id_wrapperIjLb1EEEEEvT_jjPNS9_10value_typeET0_
                                        ; -- End function
	.set _ZN7rocprim17ROCPRIM_400000_NS6detail30init_device_scan_by_key_kernelINS1_19lookback_scan_stateINS0_5tupleIJibEEELb1ELb1EEENS1_16block_id_wrapperIjLb1EEEEEvT_jjPNS9_10value_typeET0_.num_vgpr, 8
	.set _ZN7rocprim17ROCPRIM_400000_NS6detail30init_device_scan_by_key_kernelINS1_19lookback_scan_stateINS0_5tupleIJibEEELb1ELb1EEENS1_16block_id_wrapperIjLb1EEEEEvT_jjPNS9_10value_typeET0_.num_agpr, 0
	.set _ZN7rocprim17ROCPRIM_400000_NS6detail30init_device_scan_by_key_kernelINS1_19lookback_scan_stateINS0_5tupleIJibEEELb1ELb1EEENS1_16block_id_wrapperIjLb1EEEEEvT_jjPNS9_10value_typeET0_.numbered_sgpr, 16
	.set _ZN7rocprim17ROCPRIM_400000_NS6detail30init_device_scan_by_key_kernelINS1_19lookback_scan_stateINS0_5tupleIJibEEELb1ELb1EEENS1_16block_id_wrapperIjLb1EEEEEvT_jjPNS9_10value_typeET0_.num_named_barrier, 0
	.set _ZN7rocprim17ROCPRIM_400000_NS6detail30init_device_scan_by_key_kernelINS1_19lookback_scan_stateINS0_5tupleIJibEEELb1ELb1EEENS1_16block_id_wrapperIjLb1EEEEEvT_jjPNS9_10value_typeET0_.private_seg_size, 0
	.set _ZN7rocprim17ROCPRIM_400000_NS6detail30init_device_scan_by_key_kernelINS1_19lookback_scan_stateINS0_5tupleIJibEEELb1ELb1EEENS1_16block_id_wrapperIjLb1EEEEEvT_jjPNS9_10value_typeET0_.uses_vcc, 1
	.set _ZN7rocprim17ROCPRIM_400000_NS6detail30init_device_scan_by_key_kernelINS1_19lookback_scan_stateINS0_5tupleIJibEEELb1ELb1EEENS1_16block_id_wrapperIjLb1EEEEEvT_jjPNS9_10value_typeET0_.uses_flat_scratch, 0
	.set _ZN7rocprim17ROCPRIM_400000_NS6detail30init_device_scan_by_key_kernelINS1_19lookback_scan_stateINS0_5tupleIJibEEELb1ELb1EEENS1_16block_id_wrapperIjLb1EEEEEvT_jjPNS9_10value_typeET0_.has_dyn_sized_stack, 0
	.set _ZN7rocprim17ROCPRIM_400000_NS6detail30init_device_scan_by_key_kernelINS1_19lookback_scan_stateINS0_5tupleIJibEEELb1ELb1EEENS1_16block_id_wrapperIjLb1EEEEEvT_jjPNS9_10value_typeET0_.has_recursion, 0
	.set _ZN7rocprim17ROCPRIM_400000_NS6detail30init_device_scan_by_key_kernelINS1_19lookback_scan_stateINS0_5tupleIJibEEELb1ELb1EEENS1_16block_id_wrapperIjLb1EEEEEvT_jjPNS9_10value_typeET0_.has_indirect_call, 0
	.section	.AMDGPU.csdata,"",@progbits
; Kernel info:
; codeLenInByte = 492
; TotalNumSgprs: 18
; NumVgprs: 8
; ScratchSize: 0
; MemoryBound: 0
; FloatMode: 240
; IeeeMode: 1
; LDSByteSize: 0 bytes/workgroup (compile time only)
; SGPRBlocks: 0
; VGPRBlocks: 0
; NumSGPRsForWavesPerEU: 18
; NumVGPRsForWavesPerEU: 8
; Occupancy: 16
; WaveLimiterHint : 0
; COMPUTE_PGM_RSRC2:SCRATCH_EN: 0
; COMPUTE_PGM_RSRC2:USER_SGPR: 6
; COMPUTE_PGM_RSRC2:TRAP_HANDLER: 0
; COMPUTE_PGM_RSRC2:TGID_X_EN: 1
; COMPUTE_PGM_RSRC2:TGID_Y_EN: 0
; COMPUTE_PGM_RSRC2:TGID_Z_EN: 0
; COMPUTE_PGM_RSRC2:TIDIG_COMP_CNT: 0
	.section	.text._ZN7rocprim17ROCPRIM_400000_NS6detail17trampoline_kernelINS0_14default_configENS1_27scan_by_key_config_selectorImiEEZZNS1_16scan_by_key_implILNS1_25lookback_scan_determinismE0ELb0ES3_N6thrust23THRUST_200600_302600_NS18transform_iteratorI9row_indexNS9_17counting_iteratorImNS9_11use_defaultESD_SD_EESD_SD_EENS9_6detail15normal_iteratorINS9_10device_ptrIiEEEESK_iNS9_4plusIvEENS9_8equal_toIvEEiEE10hipError_tPvRmT2_T3_T4_T5_mT6_T7_P12ihipStream_tbENKUlT_T0_E_clISt17integral_constantIbLb1EES15_EEDaS10_S11_EUlS10_E_NS1_11comp_targetILNS1_3genE0ELNS1_11target_archE4294967295ELNS1_3gpuE0ELNS1_3repE0EEENS1_30default_config_static_selectorELNS0_4arch9wavefront6targetE0EEEvT1_,"axG",@progbits,_ZN7rocprim17ROCPRIM_400000_NS6detail17trampoline_kernelINS0_14default_configENS1_27scan_by_key_config_selectorImiEEZZNS1_16scan_by_key_implILNS1_25lookback_scan_determinismE0ELb0ES3_N6thrust23THRUST_200600_302600_NS18transform_iteratorI9row_indexNS9_17counting_iteratorImNS9_11use_defaultESD_SD_EESD_SD_EENS9_6detail15normal_iteratorINS9_10device_ptrIiEEEESK_iNS9_4plusIvEENS9_8equal_toIvEEiEE10hipError_tPvRmT2_T3_T4_T5_mT6_T7_P12ihipStream_tbENKUlT_T0_E_clISt17integral_constantIbLb1EES15_EEDaS10_S11_EUlS10_E_NS1_11comp_targetILNS1_3genE0ELNS1_11target_archE4294967295ELNS1_3gpuE0ELNS1_3repE0EEENS1_30default_config_static_selectorELNS0_4arch9wavefront6targetE0EEEvT1_,comdat
	.protected	_ZN7rocprim17ROCPRIM_400000_NS6detail17trampoline_kernelINS0_14default_configENS1_27scan_by_key_config_selectorImiEEZZNS1_16scan_by_key_implILNS1_25lookback_scan_determinismE0ELb0ES3_N6thrust23THRUST_200600_302600_NS18transform_iteratorI9row_indexNS9_17counting_iteratorImNS9_11use_defaultESD_SD_EESD_SD_EENS9_6detail15normal_iteratorINS9_10device_ptrIiEEEESK_iNS9_4plusIvEENS9_8equal_toIvEEiEE10hipError_tPvRmT2_T3_T4_T5_mT6_T7_P12ihipStream_tbENKUlT_T0_E_clISt17integral_constantIbLb1EES15_EEDaS10_S11_EUlS10_E_NS1_11comp_targetILNS1_3genE0ELNS1_11target_archE4294967295ELNS1_3gpuE0ELNS1_3repE0EEENS1_30default_config_static_selectorELNS0_4arch9wavefront6targetE0EEEvT1_ ; -- Begin function _ZN7rocprim17ROCPRIM_400000_NS6detail17trampoline_kernelINS0_14default_configENS1_27scan_by_key_config_selectorImiEEZZNS1_16scan_by_key_implILNS1_25lookback_scan_determinismE0ELb0ES3_N6thrust23THRUST_200600_302600_NS18transform_iteratorI9row_indexNS9_17counting_iteratorImNS9_11use_defaultESD_SD_EESD_SD_EENS9_6detail15normal_iteratorINS9_10device_ptrIiEEEESK_iNS9_4plusIvEENS9_8equal_toIvEEiEE10hipError_tPvRmT2_T3_T4_T5_mT6_T7_P12ihipStream_tbENKUlT_T0_E_clISt17integral_constantIbLb1EES15_EEDaS10_S11_EUlS10_E_NS1_11comp_targetILNS1_3genE0ELNS1_11target_archE4294967295ELNS1_3gpuE0ELNS1_3repE0EEENS1_30default_config_static_selectorELNS0_4arch9wavefront6targetE0EEEvT1_
	.globl	_ZN7rocprim17ROCPRIM_400000_NS6detail17trampoline_kernelINS0_14default_configENS1_27scan_by_key_config_selectorImiEEZZNS1_16scan_by_key_implILNS1_25lookback_scan_determinismE0ELb0ES3_N6thrust23THRUST_200600_302600_NS18transform_iteratorI9row_indexNS9_17counting_iteratorImNS9_11use_defaultESD_SD_EESD_SD_EENS9_6detail15normal_iteratorINS9_10device_ptrIiEEEESK_iNS9_4plusIvEENS9_8equal_toIvEEiEE10hipError_tPvRmT2_T3_T4_T5_mT6_T7_P12ihipStream_tbENKUlT_T0_E_clISt17integral_constantIbLb1EES15_EEDaS10_S11_EUlS10_E_NS1_11comp_targetILNS1_3genE0ELNS1_11target_archE4294967295ELNS1_3gpuE0ELNS1_3repE0EEENS1_30default_config_static_selectorELNS0_4arch9wavefront6targetE0EEEvT1_
	.p2align	8
	.type	_ZN7rocprim17ROCPRIM_400000_NS6detail17trampoline_kernelINS0_14default_configENS1_27scan_by_key_config_selectorImiEEZZNS1_16scan_by_key_implILNS1_25lookback_scan_determinismE0ELb0ES3_N6thrust23THRUST_200600_302600_NS18transform_iteratorI9row_indexNS9_17counting_iteratorImNS9_11use_defaultESD_SD_EESD_SD_EENS9_6detail15normal_iteratorINS9_10device_ptrIiEEEESK_iNS9_4plusIvEENS9_8equal_toIvEEiEE10hipError_tPvRmT2_T3_T4_T5_mT6_T7_P12ihipStream_tbENKUlT_T0_E_clISt17integral_constantIbLb1EES15_EEDaS10_S11_EUlS10_E_NS1_11comp_targetILNS1_3genE0ELNS1_11target_archE4294967295ELNS1_3gpuE0ELNS1_3repE0EEENS1_30default_config_static_selectorELNS0_4arch9wavefront6targetE0EEEvT1_,@function
_ZN7rocprim17ROCPRIM_400000_NS6detail17trampoline_kernelINS0_14default_configENS1_27scan_by_key_config_selectorImiEEZZNS1_16scan_by_key_implILNS1_25lookback_scan_determinismE0ELb0ES3_N6thrust23THRUST_200600_302600_NS18transform_iteratorI9row_indexNS9_17counting_iteratorImNS9_11use_defaultESD_SD_EESD_SD_EENS9_6detail15normal_iteratorINS9_10device_ptrIiEEEESK_iNS9_4plusIvEENS9_8equal_toIvEEiEE10hipError_tPvRmT2_T3_T4_T5_mT6_T7_P12ihipStream_tbENKUlT_T0_E_clISt17integral_constantIbLb1EES15_EEDaS10_S11_EUlS10_E_NS1_11comp_targetILNS1_3genE0ELNS1_11target_archE4294967295ELNS1_3gpuE0ELNS1_3repE0EEENS1_30default_config_static_selectorELNS0_4arch9wavefront6targetE0EEEvT1_: ; @_ZN7rocprim17ROCPRIM_400000_NS6detail17trampoline_kernelINS0_14default_configENS1_27scan_by_key_config_selectorImiEEZZNS1_16scan_by_key_implILNS1_25lookback_scan_determinismE0ELb0ES3_N6thrust23THRUST_200600_302600_NS18transform_iteratorI9row_indexNS9_17counting_iteratorImNS9_11use_defaultESD_SD_EESD_SD_EENS9_6detail15normal_iteratorINS9_10device_ptrIiEEEESK_iNS9_4plusIvEENS9_8equal_toIvEEiEE10hipError_tPvRmT2_T3_T4_T5_mT6_T7_P12ihipStream_tbENKUlT_T0_E_clISt17integral_constantIbLb1EES15_EEDaS10_S11_EUlS10_E_NS1_11comp_targetILNS1_3genE0ELNS1_11target_archE4294967295ELNS1_3gpuE0ELNS1_3repE0EEENS1_30default_config_static_selectorELNS0_4arch9wavefront6targetE0EEEvT1_
; %bb.0:
	.section	.rodata,"a",@progbits
	.p2align	6, 0x0
	.amdhsa_kernel _ZN7rocprim17ROCPRIM_400000_NS6detail17trampoline_kernelINS0_14default_configENS1_27scan_by_key_config_selectorImiEEZZNS1_16scan_by_key_implILNS1_25lookback_scan_determinismE0ELb0ES3_N6thrust23THRUST_200600_302600_NS18transform_iteratorI9row_indexNS9_17counting_iteratorImNS9_11use_defaultESD_SD_EESD_SD_EENS9_6detail15normal_iteratorINS9_10device_ptrIiEEEESK_iNS9_4plusIvEENS9_8equal_toIvEEiEE10hipError_tPvRmT2_T3_T4_T5_mT6_T7_P12ihipStream_tbENKUlT_T0_E_clISt17integral_constantIbLb1EES15_EEDaS10_S11_EUlS10_E_NS1_11comp_targetILNS1_3genE0ELNS1_11target_archE4294967295ELNS1_3gpuE0ELNS1_3repE0EEENS1_30default_config_static_selectorELNS0_4arch9wavefront6targetE0EEEvT1_
		.amdhsa_group_segment_fixed_size 0
		.amdhsa_private_segment_fixed_size 0
		.amdhsa_kernarg_size 120
		.amdhsa_user_sgpr_count 6
		.amdhsa_user_sgpr_private_segment_buffer 1
		.amdhsa_user_sgpr_dispatch_ptr 0
		.amdhsa_user_sgpr_queue_ptr 0
		.amdhsa_user_sgpr_kernarg_segment_ptr 1
		.amdhsa_user_sgpr_dispatch_id 0
		.amdhsa_user_sgpr_flat_scratch_init 0
		.amdhsa_user_sgpr_private_segment_size 0
		.amdhsa_wavefront_size32 1
		.amdhsa_uses_dynamic_stack 0
		.amdhsa_system_sgpr_private_segment_wavefront_offset 0
		.amdhsa_system_sgpr_workgroup_id_x 1
		.amdhsa_system_sgpr_workgroup_id_y 0
		.amdhsa_system_sgpr_workgroup_id_z 0
		.amdhsa_system_sgpr_workgroup_info 0
		.amdhsa_system_vgpr_workitem_id 0
		.amdhsa_next_free_vgpr 1
		.amdhsa_next_free_sgpr 1
		.amdhsa_reserve_vcc 0
		.amdhsa_reserve_flat_scratch 0
		.amdhsa_float_round_mode_32 0
		.amdhsa_float_round_mode_16_64 0
		.amdhsa_float_denorm_mode_32 3
		.amdhsa_float_denorm_mode_16_64 3
		.amdhsa_dx10_clamp 1
		.amdhsa_ieee_mode 1
		.amdhsa_fp16_overflow 0
		.amdhsa_workgroup_processor_mode 1
		.amdhsa_memory_ordered 1
		.amdhsa_forward_progress 1
		.amdhsa_shared_vgpr_count 0
		.amdhsa_exception_fp_ieee_invalid_op 0
		.amdhsa_exception_fp_denorm_src 0
		.amdhsa_exception_fp_ieee_div_zero 0
		.amdhsa_exception_fp_ieee_overflow 0
		.amdhsa_exception_fp_ieee_underflow 0
		.amdhsa_exception_fp_ieee_inexact 0
		.amdhsa_exception_int_div_zero 0
	.end_amdhsa_kernel
	.section	.text._ZN7rocprim17ROCPRIM_400000_NS6detail17trampoline_kernelINS0_14default_configENS1_27scan_by_key_config_selectorImiEEZZNS1_16scan_by_key_implILNS1_25lookback_scan_determinismE0ELb0ES3_N6thrust23THRUST_200600_302600_NS18transform_iteratorI9row_indexNS9_17counting_iteratorImNS9_11use_defaultESD_SD_EESD_SD_EENS9_6detail15normal_iteratorINS9_10device_ptrIiEEEESK_iNS9_4plusIvEENS9_8equal_toIvEEiEE10hipError_tPvRmT2_T3_T4_T5_mT6_T7_P12ihipStream_tbENKUlT_T0_E_clISt17integral_constantIbLb1EES15_EEDaS10_S11_EUlS10_E_NS1_11comp_targetILNS1_3genE0ELNS1_11target_archE4294967295ELNS1_3gpuE0ELNS1_3repE0EEENS1_30default_config_static_selectorELNS0_4arch9wavefront6targetE0EEEvT1_,"axG",@progbits,_ZN7rocprim17ROCPRIM_400000_NS6detail17trampoline_kernelINS0_14default_configENS1_27scan_by_key_config_selectorImiEEZZNS1_16scan_by_key_implILNS1_25lookback_scan_determinismE0ELb0ES3_N6thrust23THRUST_200600_302600_NS18transform_iteratorI9row_indexNS9_17counting_iteratorImNS9_11use_defaultESD_SD_EESD_SD_EENS9_6detail15normal_iteratorINS9_10device_ptrIiEEEESK_iNS9_4plusIvEENS9_8equal_toIvEEiEE10hipError_tPvRmT2_T3_T4_T5_mT6_T7_P12ihipStream_tbENKUlT_T0_E_clISt17integral_constantIbLb1EES15_EEDaS10_S11_EUlS10_E_NS1_11comp_targetILNS1_3genE0ELNS1_11target_archE4294967295ELNS1_3gpuE0ELNS1_3repE0EEENS1_30default_config_static_selectorELNS0_4arch9wavefront6targetE0EEEvT1_,comdat
.Lfunc_end14:
	.size	_ZN7rocprim17ROCPRIM_400000_NS6detail17trampoline_kernelINS0_14default_configENS1_27scan_by_key_config_selectorImiEEZZNS1_16scan_by_key_implILNS1_25lookback_scan_determinismE0ELb0ES3_N6thrust23THRUST_200600_302600_NS18transform_iteratorI9row_indexNS9_17counting_iteratorImNS9_11use_defaultESD_SD_EESD_SD_EENS9_6detail15normal_iteratorINS9_10device_ptrIiEEEESK_iNS9_4plusIvEENS9_8equal_toIvEEiEE10hipError_tPvRmT2_T3_T4_T5_mT6_T7_P12ihipStream_tbENKUlT_T0_E_clISt17integral_constantIbLb1EES15_EEDaS10_S11_EUlS10_E_NS1_11comp_targetILNS1_3genE0ELNS1_11target_archE4294967295ELNS1_3gpuE0ELNS1_3repE0EEENS1_30default_config_static_selectorELNS0_4arch9wavefront6targetE0EEEvT1_, .Lfunc_end14-_ZN7rocprim17ROCPRIM_400000_NS6detail17trampoline_kernelINS0_14default_configENS1_27scan_by_key_config_selectorImiEEZZNS1_16scan_by_key_implILNS1_25lookback_scan_determinismE0ELb0ES3_N6thrust23THRUST_200600_302600_NS18transform_iteratorI9row_indexNS9_17counting_iteratorImNS9_11use_defaultESD_SD_EESD_SD_EENS9_6detail15normal_iteratorINS9_10device_ptrIiEEEESK_iNS9_4plusIvEENS9_8equal_toIvEEiEE10hipError_tPvRmT2_T3_T4_T5_mT6_T7_P12ihipStream_tbENKUlT_T0_E_clISt17integral_constantIbLb1EES15_EEDaS10_S11_EUlS10_E_NS1_11comp_targetILNS1_3genE0ELNS1_11target_archE4294967295ELNS1_3gpuE0ELNS1_3repE0EEENS1_30default_config_static_selectorELNS0_4arch9wavefront6targetE0EEEvT1_
                                        ; -- End function
	.set _ZN7rocprim17ROCPRIM_400000_NS6detail17trampoline_kernelINS0_14default_configENS1_27scan_by_key_config_selectorImiEEZZNS1_16scan_by_key_implILNS1_25lookback_scan_determinismE0ELb0ES3_N6thrust23THRUST_200600_302600_NS18transform_iteratorI9row_indexNS9_17counting_iteratorImNS9_11use_defaultESD_SD_EESD_SD_EENS9_6detail15normal_iteratorINS9_10device_ptrIiEEEESK_iNS9_4plusIvEENS9_8equal_toIvEEiEE10hipError_tPvRmT2_T3_T4_T5_mT6_T7_P12ihipStream_tbENKUlT_T0_E_clISt17integral_constantIbLb1EES15_EEDaS10_S11_EUlS10_E_NS1_11comp_targetILNS1_3genE0ELNS1_11target_archE4294967295ELNS1_3gpuE0ELNS1_3repE0EEENS1_30default_config_static_selectorELNS0_4arch9wavefront6targetE0EEEvT1_.num_vgpr, 0
	.set _ZN7rocprim17ROCPRIM_400000_NS6detail17trampoline_kernelINS0_14default_configENS1_27scan_by_key_config_selectorImiEEZZNS1_16scan_by_key_implILNS1_25lookback_scan_determinismE0ELb0ES3_N6thrust23THRUST_200600_302600_NS18transform_iteratorI9row_indexNS9_17counting_iteratorImNS9_11use_defaultESD_SD_EESD_SD_EENS9_6detail15normal_iteratorINS9_10device_ptrIiEEEESK_iNS9_4plusIvEENS9_8equal_toIvEEiEE10hipError_tPvRmT2_T3_T4_T5_mT6_T7_P12ihipStream_tbENKUlT_T0_E_clISt17integral_constantIbLb1EES15_EEDaS10_S11_EUlS10_E_NS1_11comp_targetILNS1_3genE0ELNS1_11target_archE4294967295ELNS1_3gpuE0ELNS1_3repE0EEENS1_30default_config_static_selectorELNS0_4arch9wavefront6targetE0EEEvT1_.num_agpr, 0
	.set _ZN7rocprim17ROCPRIM_400000_NS6detail17trampoline_kernelINS0_14default_configENS1_27scan_by_key_config_selectorImiEEZZNS1_16scan_by_key_implILNS1_25lookback_scan_determinismE0ELb0ES3_N6thrust23THRUST_200600_302600_NS18transform_iteratorI9row_indexNS9_17counting_iteratorImNS9_11use_defaultESD_SD_EESD_SD_EENS9_6detail15normal_iteratorINS9_10device_ptrIiEEEESK_iNS9_4plusIvEENS9_8equal_toIvEEiEE10hipError_tPvRmT2_T3_T4_T5_mT6_T7_P12ihipStream_tbENKUlT_T0_E_clISt17integral_constantIbLb1EES15_EEDaS10_S11_EUlS10_E_NS1_11comp_targetILNS1_3genE0ELNS1_11target_archE4294967295ELNS1_3gpuE0ELNS1_3repE0EEENS1_30default_config_static_selectorELNS0_4arch9wavefront6targetE0EEEvT1_.numbered_sgpr, 0
	.set _ZN7rocprim17ROCPRIM_400000_NS6detail17trampoline_kernelINS0_14default_configENS1_27scan_by_key_config_selectorImiEEZZNS1_16scan_by_key_implILNS1_25lookback_scan_determinismE0ELb0ES3_N6thrust23THRUST_200600_302600_NS18transform_iteratorI9row_indexNS9_17counting_iteratorImNS9_11use_defaultESD_SD_EESD_SD_EENS9_6detail15normal_iteratorINS9_10device_ptrIiEEEESK_iNS9_4plusIvEENS9_8equal_toIvEEiEE10hipError_tPvRmT2_T3_T4_T5_mT6_T7_P12ihipStream_tbENKUlT_T0_E_clISt17integral_constantIbLb1EES15_EEDaS10_S11_EUlS10_E_NS1_11comp_targetILNS1_3genE0ELNS1_11target_archE4294967295ELNS1_3gpuE0ELNS1_3repE0EEENS1_30default_config_static_selectorELNS0_4arch9wavefront6targetE0EEEvT1_.num_named_barrier, 0
	.set _ZN7rocprim17ROCPRIM_400000_NS6detail17trampoline_kernelINS0_14default_configENS1_27scan_by_key_config_selectorImiEEZZNS1_16scan_by_key_implILNS1_25lookback_scan_determinismE0ELb0ES3_N6thrust23THRUST_200600_302600_NS18transform_iteratorI9row_indexNS9_17counting_iteratorImNS9_11use_defaultESD_SD_EESD_SD_EENS9_6detail15normal_iteratorINS9_10device_ptrIiEEEESK_iNS9_4plusIvEENS9_8equal_toIvEEiEE10hipError_tPvRmT2_T3_T4_T5_mT6_T7_P12ihipStream_tbENKUlT_T0_E_clISt17integral_constantIbLb1EES15_EEDaS10_S11_EUlS10_E_NS1_11comp_targetILNS1_3genE0ELNS1_11target_archE4294967295ELNS1_3gpuE0ELNS1_3repE0EEENS1_30default_config_static_selectorELNS0_4arch9wavefront6targetE0EEEvT1_.private_seg_size, 0
	.set _ZN7rocprim17ROCPRIM_400000_NS6detail17trampoline_kernelINS0_14default_configENS1_27scan_by_key_config_selectorImiEEZZNS1_16scan_by_key_implILNS1_25lookback_scan_determinismE0ELb0ES3_N6thrust23THRUST_200600_302600_NS18transform_iteratorI9row_indexNS9_17counting_iteratorImNS9_11use_defaultESD_SD_EESD_SD_EENS9_6detail15normal_iteratorINS9_10device_ptrIiEEEESK_iNS9_4plusIvEENS9_8equal_toIvEEiEE10hipError_tPvRmT2_T3_T4_T5_mT6_T7_P12ihipStream_tbENKUlT_T0_E_clISt17integral_constantIbLb1EES15_EEDaS10_S11_EUlS10_E_NS1_11comp_targetILNS1_3genE0ELNS1_11target_archE4294967295ELNS1_3gpuE0ELNS1_3repE0EEENS1_30default_config_static_selectorELNS0_4arch9wavefront6targetE0EEEvT1_.uses_vcc, 0
	.set _ZN7rocprim17ROCPRIM_400000_NS6detail17trampoline_kernelINS0_14default_configENS1_27scan_by_key_config_selectorImiEEZZNS1_16scan_by_key_implILNS1_25lookback_scan_determinismE0ELb0ES3_N6thrust23THRUST_200600_302600_NS18transform_iteratorI9row_indexNS9_17counting_iteratorImNS9_11use_defaultESD_SD_EESD_SD_EENS9_6detail15normal_iteratorINS9_10device_ptrIiEEEESK_iNS9_4plusIvEENS9_8equal_toIvEEiEE10hipError_tPvRmT2_T3_T4_T5_mT6_T7_P12ihipStream_tbENKUlT_T0_E_clISt17integral_constantIbLb1EES15_EEDaS10_S11_EUlS10_E_NS1_11comp_targetILNS1_3genE0ELNS1_11target_archE4294967295ELNS1_3gpuE0ELNS1_3repE0EEENS1_30default_config_static_selectorELNS0_4arch9wavefront6targetE0EEEvT1_.uses_flat_scratch, 0
	.set _ZN7rocprim17ROCPRIM_400000_NS6detail17trampoline_kernelINS0_14default_configENS1_27scan_by_key_config_selectorImiEEZZNS1_16scan_by_key_implILNS1_25lookback_scan_determinismE0ELb0ES3_N6thrust23THRUST_200600_302600_NS18transform_iteratorI9row_indexNS9_17counting_iteratorImNS9_11use_defaultESD_SD_EESD_SD_EENS9_6detail15normal_iteratorINS9_10device_ptrIiEEEESK_iNS9_4plusIvEENS9_8equal_toIvEEiEE10hipError_tPvRmT2_T3_T4_T5_mT6_T7_P12ihipStream_tbENKUlT_T0_E_clISt17integral_constantIbLb1EES15_EEDaS10_S11_EUlS10_E_NS1_11comp_targetILNS1_3genE0ELNS1_11target_archE4294967295ELNS1_3gpuE0ELNS1_3repE0EEENS1_30default_config_static_selectorELNS0_4arch9wavefront6targetE0EEEvT1_.has_dyn_sized_stack, 0
	.set _ZN7rocprim17ROCPRIM_400000_NS6detail17trampoline_kernelINS0_14default_configENS1_27scan_by_key_config_selectorImiEEZZNS1_16scan_by_key_implILNS1_25lookback_scan_determinismE0ELb0ES3_N6thrust23THRUST_200600_302600_NS18transform_iteratorI9row_indexNS9_17counting_iteratorImNS9_11use_defaultESD_SD_EESD_SD_EENS9_6detail15normal_iteratorINS9_10device_ptrIiEEEESK_iNS9_4plusIvEENS9_8equal_toIvEEiEE10hipError_tPvRmT2_T3_T4_T5_mT6_T7_P12ihipStream_tbENKUlT_T0_E_clISt17integral_constantIbLb1EES15_EEDaS10_S11_EUlS10_E_NS1_11comp_targetILNS1_3genE0ELNS1_11target_archE4294967295ELNS1_3gpuE0ELNS1_3repE0EEENS1_30default_config_static_selectorELNS0_4arch9wavefront6targetE0EEEvT1_.has_recursion, 0
	.set _ZN7rocprim17ROCPRIM_400000_NS6detail17trampoline_kernelINS0_14default_configENS1_27scan_by_key_config_selectorImiEEZZNS1_16scan_by_key_implILNS1_25lookback_scan_determinismE0ELb0ES3_N6thrust23THRUST_200600_302600_NS18transform_iteratorI9row_indexNS9_17counting_iteratorImNS9_11use_defaultESD_SD_EESD_SD_EENS9_6detail15normal_iteratorINS9_10device_ptrIiEEEESK_iNS9_4plusIvEENS9_8equal_toIvEEiEE10hipError_tPvRmT2_T3_T4_T5_mT6_T7_P12ihipStream_tbENKUlT_T0_E_clISt17integral_constantIbLb1EES15_EEDaS10_S11_EUlS10_E_NS1_11comp_targetILNS1_3genE0ELNS1_11target_archE4294967295ELNS1_3gpuE0ELNS1_3repE0EEENS1_30default_config_static_selectorELNS0_4arch9wavefront6targetE0EEEvT1_.has_indirect_call, 0
	.section	.AMDGPU.csdata,"",@progbits
; Kernel info:
; codeLenInByte = 0
; TotalNumSgprs: 0
; NumVgprs: 0
; ScratchSize: 0
; MemoryBound: 0
; FloatMode: 240
; IeeeMode: 1
; LDSByteSize: 0 bytes/workgroup (compile time only)
; SGPRBlocks: 0
; VGPRBlocks: 0
; NumSGPRsForWavesPerEU: 1
; NumVGPRsForWavesPerEU: 1
; Occupancy: 16
; WaveLimiterHint : 0
; COMPUTE_PGM_RSRC2:SCRATCH_EN: 0
; COMPUTE_PGM_RSRC2:USER_SGPR: 6
; COMPUTE_PGM_RSRC2:TRAP_HANDLER: 0
; COMPUTE_PGM_RSRC2:TGID_X_EN: 1
; COMPUTE_PGM_RSRC2:TGID_Y_EN: 0
; COMPUTE_PGM_RSRC2:TGID_Z_EN: 0
; COMPUTE_PGM_RSRC2:TIDIG_COMP_CNT: 0
	.section	.text._ZN7rocprim17ROCPRIM_400000_NS6detail17trampoline_kernelINS0_14default_configENS1_27scan_by_key_config_selectorImiEEZZNS1_16scan_by_key_implILNS1_25lookback_scan_determinismE0ELb0ES3_N6thrust23THRUST_200600_302600_NS18transform_iteratorI9row_indexNS9_17counting_iteratorImNS9_11use_defaultESD_SD_EESD_SD_EENS9_6detail15normal_iteratorINS9_10device_ptrIiEEEESK_iNS9_4plusIvEENS9_8equal_toIvEEiEE10hipError_tPvRmT2_T3_T4_T5_mT6_T7_P12ihipStream_tbENKUlT_T0_E_clISt17integral_constantIbLb1EES15_EEDaS10_S11_EUlS10_E_NS1_11comp_targetILNS1_3genE10ELNS1_11target_archE1201ELNS1_3gpuE5ELNS1_3repE0EEENS1_30default_config_static_selectorELNS0_4arch9wavefront6targetE0EEEvT1_,"axG",@progbits,_ZN7rocprim17ROCPRIM_400000_NS6detail17trampoline_kernelINS0_14default_configENS1_27scan_by_key_config_selectorImiEEZZNS1_16scan_by_key_implILNS1_25lookback_scan_determinismE0ELb0ES3_N6thrust23THRUST_200600_302600_NS18transform_iteratorI9row_indexNS9_17counting_iteratorImNS9_11use_defaultESD_SD_EESD_SD_EENS9_6detail15normal_iteratorINS9_10device_ptrIiEEEESK_iNS9_4plusIvEENS9_8equal_toIvEEiEE10hipError_tPvRmT2_T3_T4_T5_mT6_T7_P12ihipStream_tbENKUlT_T0_E_clISt17integral_constantIbLb1EES15_EEDaS10_S11_EUlS10_E_NS1_11comp_targetILNS1_3genE10ELNS1_11target_archE1201ELNS1_3gpuE5ELNS1_3repE0EEENS1_30default_config_static_selectorELNS0_4arch9wavefront6targetE0EEEvT1_,comdat
	.protected	_ZN7rocprim17ROCPRIM_400000_NS6detail17trampoline_kernelINS0_14default_configENS1_27scan_by_key_config_selectorImiEEZZNS1_16scan_by_key_implILNS1_25lookback_scan_determinismE0ELb0ES3_N6thrust23THRUST_200600_302600_NS18transform_iteratorI9row_indexNS9_17counting_iteratorImNS9_11use_defaultESD_SD_EESD_SD_EENS9_6detail15normal_iteratorINS9_10device_ptrIiEEEESK_iNS9_4plusIvEENS9_8equal_toIvEEiEE10hipError_tPvRmT2_T3_T4_T5_mT6_T7_P12ihipStream_tbENKUlT_T0_E_clISt17integral_constantIbLb1EES15_EEDaS10_S11_EUlS10_E_NS1_11comp_targetILNS1_3genE10ELNS1_11target_archE1201ELNS1_3gpuE5ELNS1_3repE0EEENS1_30default_config_static_selectorELNS0_4arch9wavefront6targetE0EEEvT1_ ; -- Begin function _ZN7rocprim17ROCPRIM_400000_NS6detail17trampoline_kernelINS0_14default_configENS1_27scan_by_key_config_selectorImiEEZZNS1_16scan_by_key_implILNS1_25lookback_scan_determinismE0ELb0ES3_N6thrust23THRUST_200600_302600_NS18transform_iteratorI9row_indexNS9_17counting_iteratorImNS9_11use_defaultESD_SD_EESD_SD_EENS9_6detail15normal_iteratorINS9_10device_ptrIiEEEESK_iNS9_4plusIvEENS9_8equal_toIvEEiEE10hipError_tPvRmT2_T3_T4_T5_mT6_T7_P12ihipStream_tbENKUlT_T0_E_clISt17integral_constantIbLb1EES15_EEDaS10_S11_EUlS10_E_NS1_11comp_targetILNS1_3genE10ELNS1_11target_archE1201ELNS1_3gpuE5ELNS1_3repE0EEENS1_30default_config_static_selectorELNS0_4arch9wavefront6targetE0EEEvT1_
	.globl	_ZN7rocprim17ROCPRIM_400000_NS6detail17trampoline_kernelINS0_14default_configENS1_27scan_by_key_config_selectorImiEEZZNS1_16scan_by_key_implILNS1_25lookback_scan_determinismE0ELb0ES3_N6thrust23THRUST_200600_302600_NS18transform_iteratorI9row_indexNS9_17counting_iteratorImNS9_11use_defaultESD_SD_EESD_SD_EENS9_6detail15normal_iteratorINS9_10device_ptrIiEEEESK_iNS9_4plusIvEENS9_8equal_toIvEEiEE10hipError_tPvRmT2_T3_T4_T5_mT6_T7_P12ihipStream_tbENKUlT_T0_E_clISt17integral_constantIbLb1EES15_EEDaS10_S11_EUlS10_E_NS1_11comp_targetILNS1_3genE10ELNS1_11target_archE1201ELNS1_3gpuE5ELNS1_3repE0EEENS1_30default_config_static_selectorELNS0_4arch9wavefront6targetE0EEEvT1_
	.p2align	8
	.type	_ZN7rocprim17ROCPRIM_400000_NS6detail17trampoline_kernelINS0_14default_configENS1_27scan_by_key_config_selectorImiEEZZNS1_16scan_by_key_implILNS1_25lookback_scan_determinismE0ELb0ES3_N6thrust23THRUST_200600_302600_NS18transform_iteratorI9row_indexNS9_17counting_iteratorImNS9_11use_defaultESD_SD_EESD_SD_EENS9_6detail15normal_iteratorINS9_10device_ptrIiEEEESK_iNS9_4plusIvEENS9_8equal_toIvEEiEE10hipError_tPvRmT2_T3_T4_T5_mT6_T7_P12ihipStream_tbENKUlT_T0_E_clISt17integral_constantIbLb1EES15_EEDaS10_S11_EUlS10_E_NS1_11comp_targetILNS1_3genE10ELNS1_11target_archE1201ELNS1_3gpuE5ELNS1_3repE0EEENS1_30default_config_static_selectorELNS0_4arch9wavefront6targetE0EEEvT1_,@function
_ZN7rocprim17ROCPRIM_400000_NS6detail17trampoline_kernelINS0_14default_configENS1_27scan_by_key_config_selectorImiEEZZNS1_16scan_by_key_implILNS1_25lookback_scan_determinismE0ELb0ES3_N6thrust23THRUST_200600_302600_NS18transform_iteratorI9row_indexNS9_17counting_iteratorImNS9_11use_defaultESD_SD_EESD_SD_EENS9_6detail15normal_iteratorINS9_10device_ptrIiEEEESK_iNS9_4plusIvEENS9_8equal_toIvEEiEE10hipError_tPvRmT2_T3_T4_T5_mT6_T7_P12ihipStream_tbENKUlT_T0_E_clISt17integral_constantIbLb1EES15_EEDaS10_S11_EUlS10_E_NS1_11comp_targetILNS1_3genE10ELNS1_11target_archE1201ELNS1_3gpuE5ELNS1_3repE0EEENS1_30default_config_static_selectorELNS0_4arch9wavefront6targetE0EEEvT1_: ; @_ZN7rocprim17ROCPRIM_400000_NS6detail17trampoline_kernelINS0_14default_configENS1_27scan_by_key_config_selectorImiEEZZNS1_16scan_by_key_implILNS1_25lookback_scan_determinismE0ELb0ES3_N6thrust23THRUST_200600_302600_NS18transform_iteratorI9row_indexNS9_17counting_iteratorImNS9_11use_defaultESD_SD_EESD_SD_EENS9_6detail15normal_iteratorINS9_10device_ptrIiEEEESK_iNS9_4plusIvEENS9_8equal_toIvEEiEE10hipError_tPvRmT2_T3_T4_T5_mT6_T7_P12ihipStream_tbENKUlT_T0_E_clISt17integral_constantIbLb1EES15_EEDaS10_S11_EUlS10_E_NS1_11comp_targetILNS1_3genE10ELNS1_11target_archE1201ELNS1_3gpuE5ELNS1_3repE0EEENS1_30default_config_static_selectorELNS0_4arch9wavefront6targetE0EEEvT1_
; %bb.0:
	.section	.rodata,"a",@progbits
	.p2align	6, 0x0
	.amdhsa_kernel _ZN7rocprim17ROCPRIM_400000_NS6detail17trampoline_kernelINS0_14default_configENS1_27scan_by_key_config_selectorImiEEZZNS1_16scan_by_key_implILNS1_25lookback_scan_determinismE0ELb0ES3_N6thrust23THRUST_200600_302600_NS18transform_iteratorI9row_indexNS9_17counting_iteratorImNS9_11use_defaultESD_SD_EESD_SD_EENS9_6detail15normal_iteratorINS9_10device_ptrIiEEEESK_iNS9_4plusIvEENS9_8equal_toIvEEiEE10hipError_tPvRmT2_T3_T4_T5_mT6_T7_P12ihipStream_tbENKUlT_T0_E_clISt17integral_constantIbLb1EES15_EEDaS10_S11_EUlS10_E_NS1_11comp_targetILNS1_3genE10ELNS1_11target_archE1201ELNS1_3gpuE5ELNS1_3repE0EEENS1_30default_config_static_selectorELNS0_4arch9wavefront6targetE0EEEvT1_
		.amdhsa_group_segment_fixed_size 0
		.amdhsa_private_segment_fixed_size 0
		.amdhsa_kernarg_size 120
		.amdhsa_user_sgpr_count 6
		.amdhsa_user_sgpr_private_segment_buffer 1
		.amdhsa_user_sgpr_dispatch_ptr 0
		.amdhsa_user_sgpr_queue_ptr 0
		.amdhsa_user_sgpr_kernarg_segment_ptr 1
		.amdhsa_user_sgpr_dispatch_id 0
		.amdhsa_user_sgpr_flat_scratch_init 0
		.amdhsa_user_sgpr_private_segment_size 0
		.amdhsa_wavefront_size32 1
		.amdhsa_uses_dynamic_stack 0
		.amdhsa_system_sgpr_private_segment_wavefront_offset 0
		.amdhsa_system_sgpr_workgroup_id_x 1
		.amdhsa_system_sgpr_workgroup_id_y 0
		.amdhsa_system_sgpr_workgroup_id_z 0
		.amdhsa_system_sgpr_workgroup_info 0
		.amdhsa_system_vgpr_workitem_id 0
		.amdhsa_next_free_vgpr 1
		.amdhsa_next_free_sgpr 1
		.amdhsa_reserve_vcc 0
		.amdhsa_reserve_flat_scratch 0
		.amdhsa_float_round_mode_32 0
		.amdhsa_float_round_mode_16_64 0
		.amdhsa_float_denorm_mode_32 3
		.amdhsa_float_denorm_mode_16_64 3
		.amdhsa_dx10_clamp 1
		.amdhsa_ieee_mode 1
		.amdhsa_fp16_overflow 0
		.amdhsa_workgroup_processor_mode 1
		.amdhsa_memory_ordered 1
		.amdhsa_forward_progress 1
		.amdhsa_shared_vgpr_count 0
		.amdhsa_exception_fp_ieee_invalid_op 0
		.amdhsa_exception_fp_denorm_src 0
		.amdhsa_exception_fp_ieee_div_zero 0
		.amdhsa_exception_fp_ieee_overflow 0
		.amdhsa_exception_fp_ieee_underflow 0
		.amdhsa_exception_fp_ieee_inexact 0
		.amdhsa_exception_int_div_zero 0
	.end_amdhsa_kernel
	.section	.text._ZN7rocprim17ROCPRIM_400000_NS6detail17trampoline_kernelINS0_14default_configENS1_27scan_by_key_config_selectorImiEEZZNS1_16scan_by_key_implILNS1_25lookback_scan_determinismE0ELb0ES3_N6thrust23THRUST_200600_302600_NS18transform_iteratorI9row_indexNS9_17counting_iteratorImNS9_11use_defaultESD_SD_EESD_SD_EENS9_6detail15normal_iteratorINS9_10device_ptrIiEEEESK_iNS9_4plusIvEENS9_8equal_toIvEEiEE10hipError_tPvRmT2_T3_T4_T5_mT6_T7_P12ihipStream_tbENKUlT_T0_E_clISt17integral_constantIbLb1EES15_EEDaS10_S11_EUlS10_E_NS1_11comp_targetILNS1_3genE10ELNS1_11target_archE1201ELNS1_3gpuE5ELNS1_3repE0EEENS1_30default_config_static_selectorELNS0_4arch9wavefront6targetE0EEEvT1_,"axG",@progbits,_ZN7rocprim17ROCPRIM_400000_NS6detail17trampoline_kernelINS0_14default_configENS1_27scan_by_key_config_selectorImiEEZZNS1_16scan_by_key_implILNS1_25lookback_scan_determinismE0ELb0ES3_N6thrust23THRUST_200600_302600_NS18transform_iteratorI9row_indexNS9_17counting_iteratorImNS9_11use_defaultESD_SD_EESD_SD_EENS9_6detail15normal_iteratorINS9_10device_ptrIiEEEESK_iNS9_4plusIvEENS9_8equal_toIvEEiEE10hipError_tPvRmT2_T3_T4_T5_mT6_T7_P12ihipStream_tbENKUlT_T0_E_clISt17integral_constantIbLb1EES15_EEDaS10_S11_EUlS10_E_NS1_11comp_targetILNS1_3genE10ELNS1_11target_archE1201ELNS1_3gpuE5ELNS1_3repE0EEENS1_30default_config_static_selectorELNS0_4arch9wavefront6targetE0EEEvT1_,comdat
.Lfunc_end15:
	.size	_ZN7rocprim17ROCPRIM_400000_NS6detail17trampoline_kernelINS0_14default_configENS1_27scan_by_key_config_selectorImiEEZZNS1_16scan_by_key_implILNS1_25lookback_scan_determinismE0ELb0ES3_N6thrust23THRUST_200600_302600_NS18transform_iteratorI9row_indexNS9_17counting_iteratorImNS9_11use_defaultESD_SD_EESD_SD_EENS9_6detail15normal_iteratorINS9_10device_ptrIiEEEESK_iNS9_4plusIvEENS9_8equal_toIvEEiEE10hipError_tPvRmT2_T3_T4_T5_mT6_T7_P12ihipStream_tbENKUlT_T0_E_clISt17integral_constantIbLb1EES15_EEDaS10_S11_EUlS10_E_NS1_11comp_targetILNS1_3genE10ELNS1_11target_archE1201ELNS1_3gpuE5ELNS1_3repE0EEENS1_30default_config_static_selectorELNS0_4arch9wavefront6targetE0EEEvT1_, .Lfunc_end15-_ZN7rocprim17ROCPRIM_400000_NS6detail17trampoline_kernelINS0_14default_configENS1_27scan_by_key_config_selectorImiEEZZNS1_16scan_by_key_implILNS1_25lookback_scan_determinismE0ELb0ES3_N6thrust23THRUST_200600_302600_NS18transform_iteratorI9row_indexNS9_17counting_iteratorImNS9_11use_defaultESD_SD_EESD_SD_EENS9_6detail15normal_iteratorINS9_10device_ptrIiEEEESK_iNS9_4plusIvEENS9_8equal_toIvEEiEE10hipError_tPvRmT2_T3_T4_T5_mT6_T7_P12ihipStream_tbENKUlT_T0_E_clISt17integral_constantIbLb1EES15_EEDaS10_S11_EUlS10_E_NS1_11comp_targetILNS1_3genE10ELNS1_11target_archE1201ELNS1_3gpuE5ELNS1_3repE0EEENS1_30default_config_static_selectorELNS0_4arch9wavefront6targetE0EEEvT1_
                                        ; -- End function
	.set _ZN7rocprim17ROCPRIM_400000_NS6detail17trampoline_kernelINS0_14default_configENS1_27scan_by_key_config_selectorImiEEZZNS1_16scan_by_key_implILNS1_25lookback_scan_determinismE0ELb0ES3_N6thrust23THRUST_200600_302600_NS18transform_iteratorI9row_indexNS9_17counting_iteratorImNS9_11use_defaultESD_SD_EESD_SD_EENS9_6detail15normal_iteratorINS9_10device_ptrIiEEEESK_iNS9_4plusIvEENS9_8equal_toIvEEiEE10hipError_tPvRmT2_T3_T4_T5_mT6_T7_P12ihipStream_tbENKUlT_T0_E_clISt17integral_constantIbLb1EES15_EEDaS10_S11_EUlS10_E_NS1_11comp_targetILNS1_3genE10ELNS1_11target_archE1201ELNS1_3gpuE5ELNS1_3repE0EEENS1_30default_config_static_selectorELNS0_4arch9wavefront6targetE0EEEvT1_.num_vgpr, 0
	.set _ZN7rocprim17ROCPRIM_400000_NS6detail17trampoline_kernelINS0_14default_configENS1_27scan_by_key_config_selectorImiEEZZNS1_16scan_by_key_implILNS1_25lookback_scan_determinismE0ELb0ES3_N6thrust23THRUST_200600_302600_NS18transform_iteratorI9row_indexNS9_17counting_iteratorImNS9_11use_defaultESD_SD_EESD_SD_EENS9_6detail15normal_iteratorINS9_10device_ptrIiEEEESK_iNS9_4plusIvEENS9_8equal_toIvEEiEE10hipError_tPvRmT2_T3_T4_T5_mT6_T7_P12ihipStream_tbENKUlT_T0_E_clISt17integral_constantIbLb1EES15_EEDaS10_S11_EUlS10_E_NS1_11comp_targetILNS1_3genE10ELNS1_11target_archE1201ELNS1_3gpuE5ELNS1_3repE0EEENS1_30default_config_static_selectorELNS0_4arch9wavefront6targetE0EEEvT1_.num_agpr, 0
	.set _ZN7rocprim17ROCPRIM_400000_NS6detail17trampoline_kernelINS0_14default_configENS1_27scan_by_key_config_selectorImiEEZZNS1_16scan_by_key_implILNS1_25lookback_scan_determinismE0ELb0ES3_N6thrust23THRUST_200600_302600_NS18transform_iteratorI9row_indexNS9_17counting_iteratorImNS9_11use_defaultESD_SD_EESD_SD_EENS9_6detail15normal_iteratorINS9_10device_ptrIiEEEESK_iNS9_4plusIvEENS9_8equal_toIvEEiEE10hipError_tPvRmT2_T3_T4_T5_mT6_T7_P12ihipStream_tbENKUlT_T0_E_clISt17integral_constantIbLb1EES15_EEDaS10_S11_EUlS10_E_NS1_11comp_targetILNS1_3genE10ELNS1_11target_archE1201ELNS1_3gpuE5ELNS1_3repE0EEENS1_30default_config_static_selectorELNS0_4arch9wavefront6targetE0EEEvT1_.numbered_sgpr, 0
	.set _ZN7rocprim17ROCPRIM_400000_NS6detail17trampoline_kernelINS0_14default_configENS1_27scan_by_key_config_selectorImiEEZZNS1_16scan_by_key_implILNS1_25lookback_scan_determinismE0ELb0ES3_N6thrust23THRUST_200600_302600_NS18transform_iteratorI9row_indexNS9_17counting_iteratorImNS9_11use_defaultESD_SD_EESD_SD_EENS9_6detail15normal_iteratorINS9_10device_ptrIiEEEESK_iNS9_4plusIvEENS9_8equal_toIvEEiEE10hipError_tPvRmT2_T3_T4_T5_mT6_T7_P12ihipStream_tbENKUlT_T0_E_clISt17integral_constantIbLb1EES15_EEDaS10_S11_EUlS10_E_NS1_11comp_targetILNS1_3genE10ELNS1_11target_archE1201ELNS1_3gpuE5ELNS1_3repE0EEENS1_30default_config_static_selectorELNS0_4arch9wavefront6targetE0EEEvT1_.num_named_barrier, 0
	.set _ZN7rocprim17ROCPRIM_400000_NS6detail17trampoline_kernelINS0_14default_configENS1_27scan_by_key_config_selectorImiEEZZNS1_16scan_by_key_implILNS1_25lookback_scan_determinismE0ELb0ES3_N6thrust23THRUST_200600_302600_NS18transform_iteratorI9row_indexNS9_17counting_iteratorImNS9_11use_defaultESD_SD_EESD_SD_EENS9_6detail15normal_iteratorINS9_10device_ptrIiEEEESK_iNS9_4plusIvEENS9_8equal_toIvEEiEE10hipError_tPvRmT2_T3_T4_T5_mT6_T7_P12ihipStream_tbENKUlT_T0_E_clISt17integral_constantIbLb1EES15_EEDaS10_S11_EUlS10_E_NS1_11comp_targetILNS1_3genE10ELNS1_11target_archE1201ELNS1_3gpuE5ELNS1_3repE0EEENS1_30default_config_static_selectorELNS0_4arch9wavefront6targetE0EEEvT1_.private_seg_size, 0
	.set _ZN7rocprim17ROCPRIM_400000_NS6detail17trampoline_kernelINS0_14default_configENS1_27scan_by_key_config_selectorImiEEZZNS1_16scan_by_key_implILNS1_25lookback_scan_determinismE0ELb0ES3_N6thrust23THRUST_200600_302600_NS18transform_iteratorI9row_indexNS9_17counting_iteratorImNS9_11use_defaultESD_SD_EESD_SD_EENS9_6detail15normal_iteratorINS9_10device_ptrIiEEEESK_iNS9_4plusIvEENS9_8equal_toIvEEiEE10hipError_tPvRmT2_T3_T4_T5_mT6_T7_P12ihipStream_tbENKUlT_T0_E_clISt17integral_constantIbLb1EES15_EEDaS10_S11_EUlS10_E_NS1_11comp_targetILNS1_3genE10ELNS1_11target_archE1201ELNS1_3gpuE5ELNS1_3repE0EEENS1_30default_config_static_selectorELNS0_4arch9wavefront6targetE0EEEvT1_.uses_vcc, 0
	.set _ZN7rocprim17ROCPRIM_400000_NS6detail17trampoline_kernelINS0_14default_configENS1_27scan_by_key_config_selectorImiEEZZNS1_16scan_by_key_implILNS1_25lookback_scan_determinismE0ELb0ES3_N6thrust23THRUST_200600_302600_NS18transform_iteratorI9row_indexNS9_17counting_iteratorImNS9_11use_defaultESD_SD_EESD_SD_EENS9_6detail15normal_iteratorINS9_10device_ptrIiEEEESK_iNS9_4plusIvEENS9_8equal_toIvEEiEE10hipError_tPvRmT2_T3_T4_T5_mT6_T7_P12ihipStream_tbENKUlT_T0_E_clISt17integral_constantIbLb1EES15_EEDaS10_S11_EUlS10_E_NS1_11comp_targetILNS1_3genE10ELNS1_11target_archE1201ELNS1_3gpuE5ELNS1_3repE0EEENS1_30default_config_static_selectorELNS0_4arch9wavefront6targetE0EEEvT1_.uses_flat_scratch, 0
	.set _ZN7rocprim17ROCPRIM_400000_NS6detail17trampoline_kernelINS0_14default_configENS1_27scan_by_key_config_selectorImiEEZZNS1_16scan_by_key_implILNS1_25lookback_scan_determinismE0ELb0ES3_N6thrust23THRUST_200600_302600_NS18transform_iteratorI9row_indexNS9_17counting_iteratorImNS9_11use_defaultESD_SD_EESD_SD_EENS9_6detail15normal_iteratorINS9_10device_ptrIiEEEESK_iNS9_4plusIvEENS9_8equal_toIvEEiEE10hipError_tPvRmT2_T3_T4_T5_mT6_T7_P12ihipStream_tbENKUlT_T0_E_clISt17integral_constantIbLb1EES15_EEDaS10_S11_EUlS10_E_NS1_11comp_targetILNS1_3genE10ELNS1_11target_archE1201ELNS1_3gpuE5ELNS1_3repE0EEENS1_30default_config_static_selectorELNS0_4arch9wavefront6targetE0EEEvT1_.has_dyn_sized_stack, 0
	.set _ZN7rocprim17ROCPRIM_400000_NS6detail17trampoline_kernelINS0_14default_configENS1_27scan_by_key_config_selectorImiEEZZNS1_16scan_by_key_implILNS1_25lookback_scan_determinismE0ELb0ES3_N6thrust23THRUST_200600_302600_NS18transform_iteratorI9row_indexNS9_17counting_iteratorImNS9_11use_defaultESD_SD_EESD_SD_EENS9_6detail15normal_iteratorINS9_10device_ptrIiEEEESK_iNS9_4plusIvEENS9_8equal_toIvEEiEE10hipError_tPvRmT2_T3_T4_T5_mT6_T7_P12ihipStream_tbENKUlT_T0_E_clISt17integral_constantIbLb1EES15_EEDaS10_S11_EUlS10_E_NS1_11comp_targetILNS1_3genE10ELNS1_11target_archE1201ELNS1_3gpuE5ELNS1_3repE0EEENS1_30default_config_static_selectorELNS0_4arch9wavefront6targetE0EEEvT1_.has_recursion, 0
	.set _ZN7rocprim17ROCPRIM_400000_NS6detail17trampoline_kernelINS0_14default_configENS1_27scan_by_key_config_selectorImiEEZZNS1_16scan_by_key_implILNS1_25lookback_scan_determinismE0ELb0ES3_N6thrust23THRUST_200600_302600_NS18transform_iteratorI9row_indexNS9_17counting_iteratorImNS9_11use_defaultESD_SD_EESD_SD_EENS9_6detail15normal_iteratorINS9_10device_ptrIiEEEESK_iNS9_4plusIvEENS9_8equal_toIvEEiEE10hipError_tPvRmT2_T3_T4_T5_mT6_T7_P12ihipStream_tbENKUlT_T0_E_clISt17integral_constantIbLb1EES15_EEDaS10_S11_EUlS10_E_NS1_11comp_targetILNS1_3genE10ELNS1_11target_archE1201ELNS1_3gpuE5ELNS1_3repE0EEENS1_30default_config_static_selectorELNS0_4arch9wavefront6targetE0EEEvT1_.has_indirect_call, 0
	.section	.AMDGPU.csdata,"",@progbits
; Kernel info:
; codeLenInByte = 0
; TotalNumSgprs: 0
; NumVgprs: 0
; ScratchSize: 0
; MemoryBound: 0
; FloatMode: 240
; IeeeMode: 1
; LDSByteSize: 0 bytes/workgroup (compile time only)
; SGPRBlocks: 0
; VGPRBlocks: 0
; NumSGPRsForWavesPerEU: 1
; NumVGPRsForWavesPerEU: 1
; Occupancy: 16
; WaveLimiterHint : 0
; COMPUTE_PGM_RSRC2:SCRATCH_EN: 0
; COMPUTE_PGM_RSRC2:USER_SGPR: 6
; COMPUTE_PGM_RSRC2:TRAP_HANDLER: 0
; COMPUTE_PGM_RSRC2:TGID_X_EN: 1
; COMPUTE_PGM_RSRC2:TGID_Y_EN: 0
; COMPUTE_PGM_RSRC2:TGID_Z_EN: 0
; COMPUTE_PGM_RSRC2:TIDIG_COMP_CNT: 0
	.section	.text._ZN7rocprim17ROCPRIM_400000_NS6detail17trampoline_kernelINS0_14default_configENS1_27scan_by_key_config_selectorImiEEZZNS1_16scan_by_key_implILNS1_25lookback_scan_determinismE0ELb0ES3_N6thrust23THRUST_200600_302600_NS18transform_iteratorI9row_indexNS9_17counting_iteratorImNS9_11use_defaultESD_SD_EESD_SD_EENS9_6detail15normal_iteratorINS9_10device_ptrIiEEEESK_iNS9_4plusIvEENS9_8equal_toIvEEiEE10hipError_tPvRmT2_T3_T4_T5_mT6_T7_P12ihipStream_tbENKUlT_T0_E_clISt17integral_constantIbLb1EES15_EEDaS10_S11_EUlS10_E_NS1_11comp_targetILNS1_3genE5ELNS1_11target_archE942ELNS1_3gpuE9ELNS1_3repE0EEENS1_30default_config_static_selectorELNS0_4arch9wavefront6targetE0EEEvT1_,"axG",@progbits,_ZN7rocprim17ROCPRIM_400000_NS6detail17trampoline_kernelINS0_14default_configENS1_27scan_by_key_config_selectorImiEEZZNS1_16scan_by_key_implILNS1_25lookback_scan_determinismE0ELb0ES3_N6thrust23THRUST_200600_302600_NS18transform_iteratorI9row_indexNS9_17counting_iteratorImNS9_11use_defaultESD_SD_EESD_SD_EENS9_6detail15normal_iteratorINS9_10device_ptrIiEEEESK_iNS9_4plusIvEENS9_8equal_toIvEEiEE10hipError_tPvRmT2_T3_T4_T5_mT6_T7_P12ihipStream_tbENKUlT_T0_E_clISt17integral_constantIbLb1EES15_EEDaS10_S11_EUlS10_E_NS1_11comp_targetILNS1_3genE5ELNS1_11target_archE942ELNS1_3gpuE9ELNS1_3repE0EEENS1_30default_config_static_selectorELNS0_4arch9wavefront6targetE0EEEvT1_,comdat
	.protected	_ZN7rocprim17ROCPRIM_400000_NS6detail17trampoline_kernelINS0_14default_configENS1_27scan_by_key_config_selectorImiEEZZNS1_16scan_by_key_implILNS1_25lookback_scan_determinismE0ELb0ES3_N6thrust23THRUST_200600_302600_NS18transform_iteratorI9row_indexNS9_17counting_iteratorImNS9_11use_defaultESD_SD_EESD_SD_EENS9_6detail15normal_iteratorINS9_10device_ptrIiEEEESK_iNS9_4plusIvEENS9_8equal_toIvEEiEE10hipError_tPvRmT2_T3_T4_T5_mT6_T7_P12ihipStream_tbENKUlT_T0_E_clISt17integral_constantIbLb1EES15_EEDaS10_S11_EUlS10_E_NS1_11comp_targetILNS1_3genE5ELNS1_11target_archE942ELNS1_3gpuE9ELNS1_3repE0EEENS1_30default_config_static_selectorELNS0_4arch9wavefront6targetE0EEEvT1_ ; -- Begin function _ZN7rocprim17ROCPRIM_400000_NS6detail17trampoline_kernelINS0_14default_configENS1_27scan_by_key_config_selectorImiEEZZNS1_16scan_by_key_implILNS1_25lookback_scan_determinismE0ELb0ES3_N6thrust23THRUST_200600_302600_NS18transform_iteratorI9row_indexNS9_17counting_iteratorImNS9_11use_defaultESD_SD_EESD_SD_EENS9_6detail15normal_iteratorINS9_10device_ptrIiEEEESK_iNS9_4plusIvEENS9_8equal_toIvEEiEE10hipError_tPvRmT2_T3_T4_T5_mT6_T7_P12ihipStream_tbENKUlT_T0_E_clISt17integral_constantIbLb1EES15_EEDaS10_S11_EUlS10_E_NS1_11comp_targetILNS1_3genE5ELNS1_11target_archE942ELNS1_3gpuE9ELNS1_3repE0EEENS1_30default_config_static_selectorELNS0_4arch9wavefront6targetE0EEEvT1_
	.globl	_ZN7rocprim17ROCPRIM_400000_NS6detail17trampoline_kernelINS0_14default_configENS1_27scan_by_key_config_selectorImiEEZZNS1_16scan_by_key_implILNS1_25lookback_scan_determinismE0ELb0ES3_N6thrust23THRUST_200600_302600_NS18transform_iteratorI9row_indexNS9_17counting_iteratorImNS9_11use_defaultESD_SD_EESD_SD_EENS9_6detail15normal_iteratorINS9_10device_ptrIiEEEESK_iNS9_4plusIvEENS9_8equal_toIvEEiEE10hipError_tPvRmT2_T3_T4_T5_mT6_T7_P12ihipStream_tbENKUlT_T0_E_clISt17integral_constantIbLb1EES15_EEDaS10_S11_EUlS10_E_NS1_11comp_targetILNS1_3genE5ELNS1_11target_archE942ELNS1_3gpuE9ELNS1_3repE0EEENS1_30default_config_static_selectorELNS0_4arch9wavefront6targetE0EEEvT1_
	.p2align	8
	.type	_ZN7rocprim17ROCPRIM_400000_NS6detail17trampoline_kernelINS0_14default_configENS1_27scan_by_key_config_selectorImiEEZZNS1_16scan_by_key_implILNS1_25lookback_scan_determinismE0ELb0ES3_N6thrust23THRUST_200600_302600_NS18transform_iteratorI9row_indexNS9_17counting_iteratorImNS9_11use_defaultESD_SD_EESD_SD_EENS9_6detail15normal_iteratorINS9_10device_ptrIiEEEESK_iNS9_4plusIvEENS9_8equal_toIvEEiEE10hipError_tPvRmT2_T3_T4_T5_mT6_T7_P12ihipStream_tbENKUlT_T0_E_clISt17integral_constantIbLb1EES15_EEDaS10_S11_EUlS10_E_NS1_11comp_targetILNS1_3genE5ELNS1_11target_archE942ELNS1_3gpuE9ELNS1_3repE0EEENS1_30default_config_static_selectorELNS0_4arch9wavefront6targetE0EEEvT1_,@function
_ZN7rocprim17ROCPRIM_400000_NS6detail17trampoline_kernelINS0_14default_configENS1_27scan_by_key_config_selectorImiEEZZNS1_16scan_by_key_implILNS1_25lookback_scan_determinismE0ELb0ES3_N6thrust23THRUST_200600_302600_NS18transform_iteratorI9row_indexNS9_17counting_iteratorImNS9_11use_defaultESD_SD_EESD_SD_EENS9_6detail15normal_iteratorINS9_10device_ptrIiEEEESK_iNS9_4plusIvEENS9_8equal_toIvEEiEE10hipError_tPvRmT2_T3_T4_T5_mT6_T7_P12ihipStream_tbENKUlT_T0_E_clISt17integral_constantIbLb1EES15_EEDaS10_S11_EUlS10_E_NS1_11comp_targetILNS1_3genE5ELNS1_11target_archE942ELNS1_3gpuE9ELNS1_3repE0EEENS1_30default_config_static_selectorELNS0_4arch9wavefront6targetE0EEEvT1_: ; @_ZN7rocprim17ROCPRIM_400000_NS6detail17trampoline_kernelINS0_14default_configENS1_27scan_by_key_config_selectorImiEEZZNS1_16scan_by_key_implILNS1_25lookback_scan_determinismE0ELb0ES3_N6thrust23THRUST_200600_302600_NS18transform_iteratorI9row_indexNS9_17counting_iteratorImNS9_11use_defaultESD_SD_EESD_SD_EENS9_6detail15normal_iteratorINS9_10device_ptrIiEEEESK_iNS9_4plusIvEENS9_8equal_toIvEEiEE10hipError_tPvRmT2_T3_T4_T5_mT6_T7_P12ihipStream_tbENKUlT_T0_E_clISt17integral_constantIbLb1EES15_EEDaS10_S11_EUlS10_E_NS1_11comp_targetILNS1_3genE5ELNS1_11target_archE942ELNS1_3gpuE9ELNS1_3repE0EEENS1_30default_config_static_selectorELNS0_4arch9wavefront6targetE0EEEvT1_
; %bb.0:
	.section	.rodata,"a",@progbits
	.p2align	6, 0x0
	.amdhsa_kernel _ZN7rocprim17ROCPRIM_400000_NS6detail17trampoline_kernelINS0_14default_configENS1_27scan_by_key_config_selectorImiEEZZNS1_16scan_by_key_implILNS1_25lookback_scan_determinismE0ELb0ES3_N6thrust23THRUST_200600_302600_NS18transform_iteratorI9row_indexNS9_17counting_iteratorImNS9_11use_defaultESD_SD_EESD_SD_EENS9_6detail15normal_iteratorINS9_10device_ptrIiEEEESK_iNS9_4plusIvEENS9_8equal_toIvEEiEE10hipError_tPvRmT2_T3_T4_T5_mT6_T7_P12ihipStream_tbENKUlT_T0_E_clISt17integral_constantIbLb1EES15_EEDaS10_S11_EUlS10_E_NS1_11comp_targetILNS1_3genE5ELNS1_11target_archE942ELNS1_3gpuE9ELNS1_3repE0EEENS1_30default_config_static_selectorELNS0_4arch9wavefront6targetE0EEEvT1_
		.amdhsa_group_segment_fixed_size 0
		.amdhsa_private_segment_fixed_size 0
		.amdhsa_kernarg_size 120
		.amdhsa_user_sgpr_count 6
		.amdhsa_user_sgpr_private_segment_buffer 1
		.amdhsa_user_sgpr_dispatch_ptr 0
		.amdhsa_user_sgpr_queue_ptr 0
		.amdhsa_user_sgpr_kernarg_segment_ptr 1
		.amdhsa_user_sgpr_dispatch_id 0
		.amdhsa_user_sgpr_flat_scratch_init 0
		.amdhsa_user_sgpr_private_segment_size 0
		.amdhsa_wavefront_size32 1
		.amdhsa_uses_dynamic_stack 0
		.amdhsa_system_sgpr_private_segment_wavefront_offset 0
		.amdhsa_system_sgpr_workgroup_id_x 1
		.amdhsa_system_sgpr_workgroup_id_y 0
		.amdhsa_system_sgpr_workgroup_id_z 0
		.amdhsa_system_sgpr_workgroup_info 0
		.amdhsa_system_vgpr_workitem_id 0
		.amdhsa_next_free_vgpr 1
		.amdhsa_next_free_sgpr 1
		.amdhsa_reserve_vcc 0
		.amdhsa_reserve_flat_scratch 0
		.amdhsa_float_round_mode_32 0
		.amdhsa_float_round_mode_16_64 0
		.amdhsa_float_denorm_mode_32 3
		.amdhsa_float_denorm_mode_16_64 3
		.amdhsa_dx10_clamp 1
		.amdhsa_ieee_mode 1
		.amdhsa_fp16_overflow 0
		.amdhsa_workgroup_processor_mode 1
		.amdhsa_memory_ordered 1
		.amdhsa_forward_progress 1
		.amdhsa_shared_vgpr_count 0
		.amdhsa_exception_fp_ieee_invalid_op 0
		.amdhsa_exception_fp_denorm_src 0
		.amdhsa_exception_fp_ieee_div_zero 0
		.amdhsa_exception_fp_ieee_overflow 0
		.amdhsa_exception_fp_ieee_underflow 0
		.amdhsa_exception_fp_ieee_inexact 0
		.amdhsa_exception_int_div_zero 0
	.end_amdhsa_kernel
	.section	.text._ZN7rocprim17ROCPRIM_400000_NS6detail17trampoline_kernelINS0_14default_configENS1_27scan_by_key_config_selectorImiEEZZNS1_16scan_by_key_implILNS1_25lookback_scan_determinismE0ELb0ES3_N6thrust23THRUST_200600_302600_NS18transform_iteratorI9row_indexNS9_17counting_iteratorImNS9_11use_defaultESD_SD_EESD_SD_EENS9_6detail15normal_iteratorINS9_10device_ptrIiEEEESK_iNS9_4plusIvEENS9_8equal_toIvEEiEE10hipError_tPvRmT2_T3_T4_T5_mT6_T7_P12ihipStream_tbENKUlT_T0_E_clISt17integral_constantIbLb1EES15_EEDaS10_S11_EUlS10_E_NS1_11comp_targetILNS1_3genE5ELNS1_11target_archE942ELNS1_3gpuE9ELNS1_3repE0EEENS1_30default_config_static_selectorELNS0_4arch9wavefront6targetE0EEEvT1_,"axG",@progbits,_ZN7rocprim17ROCPRIM_400000_NS6detail17trampoline_kernelINS0_14default_configENS1_27scan_by_key_config_selectorImiEEZZNS1_16scan_by_key_implILNS1_25lookback_scan_determinismE0ELb0ES3_N6thrust23THRUST_200600_302600_NS18transform_iteratorI9row_indexNS9_17counting_iteratorImNS9_11use_defaultESD_SD_EESD_SD_EENS9_6detail15normal_iteratorINS9_10device_ptrIiEEEESK_iNS9_4plusIvEENS9_8equal_toIvEEiEE10hipError_tPvRmT2_T3_T4_T5_mT6_T7_P12ihipStream_tbENKUlT_T0_E_clISt17integral_constantIbLb1EES15_EEDaS10_S11_EUlS10_E_NS1_11comp_targetILNS1_3genE5ELNS1_11target_archE942ELNS1_3gpuE9ELNS1_3repE0EEENS1_30default_config_static_selectorELNS0_4arch9wavefront6targetE0EEEvT1_,comdat
.Lfunc_end16:
	.size	_ZN7rocprim17ROCPRIM_400000_NS6detail17trampoline_kernelINS0_14default_configENS1_27scan_by_key_config_selectorImiEEZZNS1_16scan_by_key_implILNS1_25lookback_scan_determinismE0ELb0ES3_N6thrust23THRUST_200600_302600_NS18transform_iteratorI9row_indexNS9_17counting_iteratorImNS9_11use_defaultESD_SD_EESD_SD_EENS9_6detail15normal_iteratorINS9_10device_ptrIiEEEESK_iNS9_4plusIvEENS9_8equal_toIvEEiEE10hipError_tPvRmT2_T3_T4_T5_mT6_T7_P12ihipStream_tbENKUlT_T0_E_clISt17integral_constantIbLb1EES15_EEDaS10_S11_EUlS10_E_NS1_11comp_targetILNS1_3genE5ELNS1_11target_archE942ELNS1_3gpuE9ELNS1_3repE0EEENS1_30default_config_static_selectorELNS0_4arch9wavefront6targetE0EEEvT1_, .Lfunc_end16-_ZN7rocprim17ROCPRIM_400000_NS6detail17trampoline_kernelINS0_14default_configENS1_27scan_by_key_config_selectorImiEEZZNS1_16scan_by_key_implILNS1_25lookback_scan_determinismE0ELb0ES3_N6thrust23THRUST_200600_302600_NS18transform_iteratorI9row_indexNS9_17counting_iteratorImNS9_11use_defaultESD_SD_EESD_SD_EENS9_6detail15normal_iteratorINS9_10device_ptrIiEEEESK_iNS9_4plusIvEENS9_8equal_toIvEEiEE10hipError_tPvRmT2_T3_T4_T5_mT6_T7_P12ihipStream_tbENKUlT_T0_E_clISt17integral_constantIbLb1EES15_EEDaS10_S11_EUlS10_E_NS1_11comp_targetILNS1_3genE5ELNS1_11target_archE942ELNS1_3gpuE9ELNS1_3repE0EEENS1_30default_config_static_selectorELNS0_4arch9wavefront6targetE0EEEvT1_
                                        ; -- End function
	.set _ZN7rocprim17ROCPRIM_400000_NS6detail17trampoline_kernelINS0_14default_configENS1_27scan_by_key_config_selectorImiEEZZNS1_16scan_by_key_implILNS1_25lookback_scan_determinismE0ELb0ES3_N6thrust23THRUST_200600_302600_NS18transform_iteratorI9row_indexNS9_17counting_iteratorImNS9_11use_defaultESD_SD_EESD_SD_EENS9_6detail15normal_iteratorINS9_10device_ptrIiEEEESK_iNS9_4plusIvEENS9_8equal_toIvEEiEE10hipError_tPvRmT2_T3_T4_T5_mT6_T7_P12ihipStream_tbENKUlT_T0_E_clISt17integral_constantIbLb1EES15_EEDaS10_S11_EUlS10_E_NS1_11comp_targetILNS1_3genE5ELNS1_11target_archE942ELNS1_3gpuE9ELNS1_3repE0EEENS1_30default_config_static_selectorELNS0_4arch9wavefront6targetE0EEEvT1_.num_vgpr, 0
	.set _ZN7rocprim17ROCPRIM_400000_NS6detail17trampoline_kernelINS0_14default_configENS1_27scan_by_key_config_selectorImiEEZZNS1_16scan_by_key_implILNS1_25lookback_scan_determinismE0ELb0ES3_N6thrust23THRUST_200600_302600_NS18transform_iteratorI9row_indexNS9_17counting_iteratorImNS9_11use_defaultESD_SD_EESD_SD_EENS9_6detail15normal_iteratorINS9_10device_ptrIiEEEESK_iNS9_4plusIvEENS9_8equal_toIvEEiEE10hipError_tPvRmT2_T3_T4_T5_mT6_T7_P12ihipStream_tbENKUlT_T0_E_clISt17integral_constantIbLb1EES15_EEDaS10_S11_EUlS10_E_NS1_11comp_targetILNS1_3genE5ELNS1_11target_archE942ELNS1_3gpuE9ELNS1_3repE0EEENS1_30default_config_static_selectorELNS0_4arch9wavefront6targetE0EEEvT1_.num_agpr, 0
	.set _ZN7rocprim17ROCPRIM_400000_NS6detail17trampoline_kernelINS0_14default_configENS1_27scan_by_key_config_selectorImiEEZZNS1_16scan_by_key_implILNS1_25lookback_scan_determinismE0ELb0ES3_N6thrust23THRUST_200600_302600_NS18transform_iteratorI9row_indexNS9_17counting_iteratorImNS9_11use_defaultESD_SD_EESD_SD_EENS9_6detail15normal_iteratorINS9_10device_ptrIiEEEESK_iNS9_4plusIvEENS9_8equal_toIvEEiEE10hipError_tPvRmT2_T3_T4_T5_mT6_T7_P12ihipStream_tbENKUlT_T0_E_clISt17integral_constantIbLb1EES15_EEDaS10_S11_EUlS10_E_NS1_11comp_targetILNS1_3genE5ELNS1_11target_archE942ELNS1_3gpuE9ELNS1_3repE0EEENS1_30default_config_static_selectorELNS0_4arch9wavefront6targetE0EEEvT1_.numbered_sgpr, 0
	.set _ZN7rocprim17ROCPRIM_400000_NS6detail17trampoline_kernelINS0_14default_configENS1_27scan_by_key_config_selectorImiEEZZNS1_16scan_by_key_implILNS1_25lookback_scan_determinismE0ELb0ES3_N6thrust23THRUST_200600_302600_NS18transform_iteratorI9row_indexNS9_17counting_iteratorImNS9_11use_defaultESD_SD_EESD_SD_EENS9_6detail15normal_iteratorINS9_10device_ptrIiEEEESK_iNS9_4plusIvEENS9_8equal_toIvEEiEE10hipError_tPvRmT2_T3_T4_T5_mT6_T7_P12ihipStream_tbENKUlT_T0_E_clISt17integral_constantIbLb1EES15_EEDaS10_S11_EUlS10_E_NS1_11comp_targetILNS1_3genE5ELNS1_11target_archE942ELNS1_3gpuE9ELNS1_3repE0EEENS1_30default_config_static_selectorELNS0_4arch9wavefront6targetE0EEEvT1_.num_named_barrier, 0
	.set _ZN7rocprim17ROCPRIM_400000_NS6detail17trampoline_kernelINS0_14default_configENS1_27scan_by_key_config_selectorImiEEZZNS1_16scan_by_key_implILNS1_25lookback_scan_determinismE0ELb0ES3_N6thrust23THRUST_200600_302600_NS18transform_iteratorI9row_indexNS9_17counting_iteratorImNS9_11use_defaultESD_SD_EESD_SD_EENS9_6detail15normal_iteratorINS9_10device_ptrIiEEEESK_iNS9_4plusIvEENS9_8equal_toIvEEiEE10hipError_tPvRmT2_T3_T4_T5_mT6_T7_P12ihipStream_tbENKUlT_T0_E_clISt17integral_constantIbLb1EES15_EEDaS10_S11_EUlS10_E_NS1_11comp_targetILNS1_3genE5ELNS1_11target_archE942ELNS1_3gpuE9ELNS1_3repE0EEENS1_30default_config_static_selectorELNS0_4arch9wavefront6targetE0EEEvT1_.private_seg_size, 0
	.set _ZN7rocprim17ROCPRIM_400000_NS6detail17trampoline_kernelINS0_14default_configENS1_27scan_by_key_config_selectorImiEEZZNS1_16scan_by_key_implILNS1_25lookback_scan_determinismE0ELb0ES3_N6thrust23THRUST_200600_302600_NS18transform_iteratorI9row_indexNS9_17counting_iteratorImNS9_11use_defaultESD_SD_EESD_SD_EENS9_6detail15normal_iteratorINS9_10device_ptrIiEEEESK_iNS9_4plusIvEENS9_8equal_toIvEEiEE10hipError_tPvRmT2_T3_T4_T5_mT6_T7_P12ihipStream_tbENKUlT_T0_E_clISt17integral_constantIbLb1EES15_EEDaS10_S11_EUlS10_E_NS1_11comp_targetILNS1_3genE5ELNS1_11target_archE942ELNS1_3gpuE9ELNS1_3repE0EEENS1_30default_config_static_selectorELNS0_4arch9wavefront6targetE0EEEvT1_.uses_vcc, 0
	.set _ZN7rocprim17ROCPRIM_400000_NS6detail17trampoline_kernelINS0_14default_configENS1_27scan_by_key_config_selectorImiEEZZNS1_16scan_by_key_implILNS1_25lookback_scan_determinismE0ELb0ES3_N6thrust23THRUST_200600_302600_NS18transform_iteratorI9row_indexNS9_17counting_iteratorImNS9_11use_defaultESD_SD_EESD_SD_EENS9_6detail15normal_iteratorINS9_10device_ptrIiEEEESK_iNS9_4plusIvEENS9_8equal_toIvEEiEE10hipError_tPvRmT2_T3_T4_T5_mT6_T7_P12ihipStream_tbENKUlT_T0_E_clISt17integral_constantIbLb1EES15_EEDaS10_S11_EUlS10_E_NS1_11comp_targetILNS1_3genE5ELNS1_11target_archE942ELNS1_3gpuE9ELNS1_3repE0EEENS1_30default_config_static_selectorELNS0_4arch9wavefront6targetE0EEEvT1_.uses_flat_scratch, 0
	.set _ZN7rocprim17ROCPRIM_400000_NS6detail17trampoline_kernelINS0_14default_configENS1_27scan_by_key_config_selectorImiEEZZNS1_16scan_by_key_implILNS1_25lookback_scan_determinismE0ELb0ES3_N6thrust23THRUST_200600_302600_NS18transform_iteratorI9row_indexNS9_17counting_iteratorImNS9_11use_defaultESD_SD_EESD_SD_EENS9_6detail15normal_iteratorINS9_10device_ptrIiEEEESK_iNS9_4plusIvEENS9_8equal_toIvEEiEE10hipError_tPvRmT2_T3_T4_T5_mT6_T7_P12ihipStream_tbENKUlT_T0_E_clISt17integral_constantIbLb1EES15_EEDaS10_S11_EUlS10_E_NS1_11comp_targetILNS1_3genE5ELNS1_11target_archE942ELNS1_3gpuE9ELNS1_3repE0EEENS1_30default_config_static_selectorELNS0_4arch9wavefront6targetE0EEEvT1_.has_dyn_sized_stack, 0
	.set _ZN7rocprim17ROCPRIM_400000_NS6detail17trampoline_kernelINS0_14default_configENS1_27scan_by_key_config_selectorImiEEZZNS1_16scan_by_key_implILNS1_25lookback_scan_determinismE0ELb0ES3_N6thrust23THRUST_200600_302600_NS18transform_iteratorI9row_indexNS9_17counting_iteratorImNS9_11use_defaultESD_SD_EESD_SD_EENS9_6detail15normal_iteratorINS9_10device_ptrIiEEEESK_iNS9_4plusIvEENS9_8equal_toIvEEiEE10hipError_tPvRmT2_T3_T4_T5_mT6_T7_P12ihipStream_tbENKUlT_T0_E_clISt17integral_constantIbLb1EES15_EEDaS10_S11_EUlS10_E_NS1_11comp_targetILNS1_3genE5ELNS1_11target_archE942ELNS1_3gpuE9ELNS1_3repE0EEENS1_30default_config_static_selectorELNS0_4arch9wavefront6targetE0EEEvT1_.has_recursion, 0
	.set _ZN7rocprim17ROCPRIM_400000_NS6detail17trampoline_kernelINS0_14default_configENS1_27scan_by_key_config_selectorImiEEZZNS1_16scan_by_key_implILNS1_25lookback_scan_determinismE0ELb0ES3_N6thrust23THRUST_200600_302600_NS18transform_iteratorI9row_indexNS9_17counting_iteratorImNS9_11use_defaultESD_SD_EESD_SD_EENS9_6detail15normal_iteratorINS9_10device_ptrIiEEEESK_iNS9_4plusIvEENS9_8equal_toIvEEiEE10hipError_tPvRmT2_T3_T4_T5_mT6_T7_P12ihipStream_tbENKUlT_T0_E_clISt17integral_constantIbLb1EES15_EEDaS10_S11_EUlS10_E_NS1_11comp_targetILNS1_3genE5ELNS1_11target_archE942ELNS1_3gpuE9ELNS1_3repE0EEENS1_30default_config_static_selectorELNS0_4arch9wavefront6targetE0EEEvT1_.has_indirect_call, 0
	.section	.AMDGPU.csdata,"",@progbits
; Kernel info:
; codeLenInByte = 0
; TotalNumSgprs: 0
; NumVgprs: 0
; ScratchSize: 0
; MemoryBound: 0
; FloatMode: 240
; IeeeMode: 1
; LDSByteSize: 0 bytes/workgroup (compile time only)
; SGPRBlocks: 0
; VGPRBlocks: 0
; NumSGPRsForWavesPerEU: 1
; NumVGPRsForWavesPerEU: 1
; Occupancy: 16
; WaveLimiterHint : 0
; COMPUTE_PGM_RSRC2:SCRATCH_EN: 0
; COMPUTE_PGM_RSRC2:USER_SGPR: 6
; COMPUTE_PGM_RSRC2:TRAP_HANDLER: 0
; COMPUTE_PGM_RSRC2:TGID_X_EN: 1
; COMPUTE_PGM_RSRC2:TGID_Y_EN: 0
; COMPUTE_PGM_RSRC2:TGID_Z_EN: 0
; COMPUTE_PGM_RSRC2:TIDIG_COMP_CNT: 0
	.section	.text._ZN7rocprim17ROCPRIM_400000_NS6detail17trampoline_kernelINS0_14default_configENS1_27scan_by_key_config_selectorImiEEZZNS1_16scan_by_key_implILNS1_25lookback_scan_determinismE0ELb0ES3_N6thrust23THRUST_200600_302600_NS18transform_iteratorI9row_indexNS9_17counting_iteratorImNS9_11use_defaultESD_SD_EESD_SD_EENS9_6detail15normal_iteratorINS9_10device_ptrIiEEEESK_iNS9_4plusIvEENS9_8equal_toIvEEiEE10hipError_tPvRmT2_T3_T4_T5_mT6_T7_P12ihipStream_tbENKUlT_T0_E_clISt17integral_constantIbLb1EES15_EEDaS10_S11_EUlS10_E_NS1_11comp_targetILNS1_3genE4ELNS1_11target_archE910ELNS1_3gpuE8ELNS1_3repE0EEENS1_30default_config_static_selectorELNS0_4arch9wavefront6targetE0EEEvT1_,"axG",@progbits,_ZN7rocprim17ROCPRIM_400000_NS6detail17trampoline_kernelINS0_14default_configENS1_27scan_by_key_config_selectorImiEEZZNS1_16scan_by_key_implILNS1_25lookback_scan_determinismE0ELb0ES3_N6thrust23THRUST_200600_302600_NS18transform_iteratorI9row_indexNS9_17counting_iteratorImNS9_11use_defaultESD_SD_EESD_SD_EENS9_6detail15normal_iteratorINS9_10device_ptrIiEEEESK_iNS9_4plusIvEENS9_8equal_toIvEEiEE10hipError_tPvRmT2_T3_T4_T5_mT6_T7_P12ihipStream_tbENKUlT_T0_E_clISt17integral_constantIbLb1EES15_EEDaS10_S11_EUlS10_E_NS1_11comp_targetILNS1_3genE4ELNS1_11target_archE910ELNS1_3gpuE8ELNS1_3repE0EEENS1_30default_config_static_selectorELNS0_4arch9wavefront6targetE0EEEvT1_,comdat
	.protected	_ZN7rocprim17ROCPRIM_400000_NS6detail17trampoline_kernelINS0_14default_configENS1_27scan_by_key_config_selectorImiEEZZNS1_16scan_by_key_implILNS1_25lookback_scan_determinismE0ELb0ES3_N6thrust23THRUST_200600_302600_NS18transform_iteratorI9row_indexNS9_17counting_iteratorImNS9_11use_defaultESD_SD_EESD_SD_EENS9_6detail15normal_iteratorINS9_10device_ptrIiEEEESK_iNS9_4plusIvEENS9_8equal_toIvEEiEE10hipError_tPvRmT2_T3_T4_T5_mT6_T7_P12ihipStream_tbENKUlT_T0_E_clISt17integral_constantIbLb1EES15_EEDaS10_S11_EUlS10_E_NS1_11comp_targetILNS1_3genE4ELNS1_11target_archE910ELNS1_3gpuE8ELNS1_3repE0EEENS1_30default_config_static_selectorELNS0_4arch9wavefront6targetE0EEEvT1_ ; -- Begin function _ZN7rocprim17ROCPRIM_400000_NS6detail17trampoline_kernelINS0_14default_configENS1_27scan_by_key_config_selectorImiEEZZNS1_16scan_by_key_implILNS1_25lookback_scan_determinismE0ELb0ES3_N6thrust23THRUST_200600_302600_NS18transform_iteratorI9row_indexNS9_17counting_iteratorImNS9_11use_defaultESD_SD_EESD_SD_EENS9_6detail15normal_iteratorINS9_10device_ptrIiEEEESK_iNS9_4plusIvEENS9_8equal_toIvEEiEE10hipError_tPvRmT2_T3_T4_T5_mT6_T7_P12ihipStream_tbENKUlT_T0_E_clISt17integral_constantIbLb1EES15_EEDaS10_S11_EUlS10_E_NS1_11comp_targetILNS1_3genE4ELNS1_11target_archE910ELNS1_3gpuE8ELNS1_3repE0EEENS1_30default_config_static_selectorELNS0_4arch9wavefront6targetE0EEEvT1_
	.globl	_ZN7rocprim17ROCPRIM_400000_NS6detail17trampoline_kernelINS0_14default_configENS1_27scan_by_key_config_selectorImiEEZZNS1_16scan_by_key_implILNS1_25lookback_scan_determinismE0ELb0ES3_N6thrust23THRUST_200600_302600_NS18transform_iteratorI9row_indexNS9_17counting_iteratorImNS9_11use_defaultESD_SD_EESD_SD_EENS9_6detail15normal_iteratorINS9_10device_ptrIiEEEESK_iNS9_4plusIvEENS9_8equal_toIvEEiEE10hipError_tPvRmT2_T3_T4_T5_mT6_T7_P12ihipStream_tbENKUlT_T0_E_clISt17integral_constantIbLb1EES15_EEDaS10_S11_EUlS10_E_NS1_11comp_targetILNS1_3genE4ELNS1_11target_archE910ELNS1_3gpuE8ELNS1_3repE0EEENS1_30default_config_static_selectorELNS0_4arch9wavefront6targetE0EEEvT1_
	.p2align	8
	.type	_ZN7rocprim17ROCPRIM_400000_NS6detail17trampoline_kernelINS0_14default_configENS1_27scan_by_key_config_selectorImiEEZZNS1_16scan_by_key_implILNS1_25lookback_scan_determinismE0ELb0ES3_N6thrust23THRUST_200600_302600_NS18transform_iteratorI9row_indexNS9_17counting_iteratorImNS9_11use_defaultESD_SD_EESD_SD_EENS9_6detail15normal_iteratorINS9_10device_ptrIiEEEESK_iNS9_4plusIvEENS9_8equal_toIvEEiEE10hipError_tPvRmT2_T3_T4_T5_mT6_T7_P12ihipStream_tbENKUlT_T0_E_clISt17integral_constantIbLb1EES15_EEDaS10_S11_EUlS10_E_NS1_11comp_targetILNS1_3genE4ELNS1_11target_archE910ELNS1_3gpuE8ELNS1_3repE0EEENS1_30default_config_static_selectorELNS0_4arch9wavefront6targetE0EEEvT1_,@function
_ZN7rocprim17ROCPRIM_400000_NS6detail17trampoline_kernelINS0_14default_configENS1_27scan_by_key_config_selectorImiEEZZNS1_16scan_by_key_implILNS1_25lookback_scan_determinismE0ELb0ES3_N6thrust23THRUST_200600_302600_NS18transform_iteratorI9row_indexNS9_17counting_iteratorImNS9_11use_defaultESD_SD_EESD_SD_EENS9_6detail15normal_iteratorINS9_10device_ptrIiEEEESK_iNS9_4plusIvEENS9_8equal_toIvEEiEE10hipError_tPvRmT2_T3_T4_T5_mT6_T7_P12ihipStream_tbENKUlT_T0_E_clISt17integral_constantIbLb1EES15_EEDaS10_S11_EUlS10_E_NS1_11comp_targetILNS1_3genE4ELNS1_11target_archE910ELNS1_3gpuE8ELNS1_3repE0EEENS1_30default_config_static_selectorELNS0_4arch9wavefront6targetE0EEEvT1_: ; @_ZN7rocprim17ROCPRIM_400000_NS6detail17trampoline_kernelINS0_14default_configENS1_27scan_by_key_config_selectorImiEEZZNS1_16scan_by_key_implILNS1_25lookback_scan_determinismE0ELb0ES3_N6thrust23THRUST_200600_302600_NS18transform_iteratorI9row_indexNS9_17counting_iteratorImNS9_11use_defaultESD_SD_EESD_SD_EENS9_6detail15normal_iteratorINS9_10device_ptrIiEEEESK_iNS9_4plusIvEENS9_8equal_toIvEEiEE10hipError_tPvRmT2_T3_T4_T5_mT6_T7_P12ihipStream_tbENKUlT_T0_E_clISt17integral_constantIbLb1EES15_EEDaS10_S11_EUlS10_E_NS1_11comp_targetILNS1_3genE4ELNS1_11target_archE910ELNS1_3gpuE8ELNS1_3repE0EEENS1_30default_config_static_selectorELNS0_4arch9wavefront6targetE0EEEvT1_
; %bb.0:
	.section	.rodata,"a",@progbits
	.p2align	6, 0x0
	.amdhsa_kernel _ZN7rocprim17ROCPRIM_400000_NS6detail17trampoline_kernelINS0_14default_configENS1_27scan_by_key_config_selectorImiEEZZNS1_16scan_by_key_implILNS1_25lookback_scan_determinismE0ELb0ES3_N6thrust23THRUST_200600_302600_NS18transform_iteratorI9row_indexNS9_17counting_iteratorImNS9_11use_defaultESD_SD_EESD_SD_EENS9_6detail15normal_iteratorINS9_10device_ptrIiEEEESK_iNS9_4plusIvEENS9_8equal_toIvEEiEE10hipError_tPvRmT2_T3_T4_T5_mT6_T7_P12ihipStream_tbENKUlT_T0_E_clISt17integral_constantIbLb1EES15_EEDaS10_S11_EUlS10_E_NS1_11comp_targetILNS1_3genE4ELNS1_11target_archE910ELNS1_3gpuE8ELNS1_3repE0EEENS1_30default_config_static_selectorELNS0_4arch9wavefront6targetE0EEEvT1_
		.amdhsa_group_segment_fixed_size 0
		.amdhsa_private_segment_fixed_size 0
		.amdhsa_kernarg_size 120
		.amdhsa_user_sgpr_count 6
		.amdhsa_user_sgpr_private_segment_buffer 1
		.amdhsa_user_sgpr_dispatch_ptr 0
		.amdhsa_user_sgpr_queue_ptr 0
		.amdhsa_user_sgpr_kernarg_segment_ptr 1
		.amdhsa_user_sgpr_dispatch_id 0
		.amdhsa_user_sgpr_flat_scratch_init 0
		.amdhsa_user_sgpr_private_segment_size 0
		.amdhsa_wavefront_size32 1
		.amdhsa_uses_dynamic_stack 0
		.amdhsa_system_sgpr_private_segment_wavefront_offset 0
		.amdhsa_system_sgpr_workgroup_id_x 1
		.amdhsa_system_sgpr_workgroup_id_y 0
		.amdhsa_system_sgpr_workgroup_id_z 0
		.amdhsa_system_sgpr_workgroup_info 0
		.amdhsa_system_vgpr_workitem_id 0
		.amdhsa_next_free_vgpr 1
		.amdhsa_next_free_sgpr 1
		.amdhsa_reserve_vcc 0
		.amdhsa_reserve_flat_scratch 0
		.amdhsa_float_round_mode_32 0
		.amdhsa_float_round_mode_16_64 0
		.amdhsa_float_denorm_mode_32 3
		.amdhsa_float_denorm_mode_16_64 3
		.amdhsa_dx10_clamp 1
		.amdhsa_ieee_mode 1
		.amdhsa_fp16_overflow 0
		.amdhsa_workgroup_processor_mode 1
		.amdhsa_memory_ordered 1
		.amdhsa_forward_progress 1
		.amdhsa_shared_vgpr_count 0
		.amdhsa_exception_fp_ieee_invalid_op 0
		.amdhsa_exception_fp_denorm_src 0
		.amdhsa_exception_fp_ieee_div_zero 0
		.amdhsa_exception_fp_ieee_overflow 0
		.amdhsa_exception_fp_ieee_underflow 0
		.amdhsa_exception_fp_ieee_inexact 0
		.amdhsa_exception_int_div_zero 0
	.end_amdhsa_kernel
	.section	.text._ZN7rocprim17ROCPRIM_400000_NS6detail17trampoline_kernelINS0_14default_configENS1_27scan_by_key_config_selectorImiEEZZNS1_16scan_by_key_implILNS1_25lookback_scan_determinismE0ELb0ES3_N6thrust23THRUST_200600_302600_NS18transform_iteratorI9row_indexNS9_17counting_iteratorImNS9_11use_defaultESD_SD_EESD_SD_EENS9_6detail15normal_iteratorINS9_10device_ptrIiEEEESK_iNS9_4plusIvEENS9_8equal_toIvEEiEE10hipError_tPvRmT2_T3_T4_T5_mT6_T7_P12ihipStream_tbENKUlT_T0_E_clISt17integral_constantIbLb1EES15_EEDaS10_S11_EUlS10_E_NS1_11comp_targetILNS1_3genE4ELNS1_11target_archE910ELNS1_3gpuE8ELNS1_3repE0EEENS1_30default_config_static_selectorELNS0_4arch9wavefront6targetE0EEEvT1_,"axG",@progbits,_ZN7rocprim17ROCPRIM_400000_NS6detail17trampoline_kernelINS0_14default_configENS1_27scan_by_key_config_selectorImiEEZZNS1_16scan_by_key_implILNS1_25lookback_scan_determinismE0ELb0ES3_N6thrust23THRUST_200600_302600_NS18transform_iteratorI9row_indexNS9_17counting_iteratorImNS9_11use_defaultESD_SD_EESD_SD_EENS9_6detail15normal_iteratorINS9_10device_ptrIiEEEESK_iNS9_4plusIvEENS9_8equal_toIvEEiEE10hipError_tPvRmT2_T3_T4_T5_mT6_T7_P12ihipStream_tbENKUlT_T0_E_clISt17integral_constantIbLb1EES15_EEDaS10_S11_EUlS10_E_NS1_11comp_targetILNS1_3genE4ELNS1_11target_archE910ELNS1_3gpuE8ELNS1_3repE0EEENS1_30default_config_static_selectorELNS0_4arch9wavefront6targetE0EEEvT1_,comdat
.Lfunc_end17:
	.size	_ZN7rocprim17ROCPRIM_400000_NS6detail17trampoline_kernelINS0_14default_configENS1_27scan_by_key_config_selectorImiEEZZNS1_16scan_by_key_implILNS1_25lookback_scan_determinismE0ELb0ES3_N6thrust23THRUST_200600_302600_NS18transform_iteratorI9row_indexNS9_17counting_iteratorImNS9_11use_defaultESD_SD_EESD_SD_EENS9_6detail15normal_iteratorINS9_10device_ptrIiEEEESK_iNS9_4plusIvEENS9_8equal_toIvEEiEE10hipError_tPvRmT2_T3_T4_T5_mT6_T7_P12ihipStream_tbENKUlT_T0_E_clISt17integral_constantIbLb1EES15_EEDaS10_S11_EUlS10_E_NS1_11comp_targetILNS1_3genE4ELNS1_11target_archE910ELNS1_3gpuE8ELNS1_3repE0EEENS1_30default_config_static_selectorELNS0_4arch9wavefront6targetE0EEEvT1_, .Lfunc_end17-_ZN7rocprim17ROCPRIM_400000_NS6detail17trampoline_kernelINS0_14default_configENS1_27scan_by_key_config_selectorImiEEZZNS1_16scan_by_key_implILNS1_25lookback_scan_determinismE0ELb0ES3_N6thrust23THRUST_200600_302600_NS18transform_iteratorI9row_indexNS9_17counting_iteratorImNS9_11use_defaultESD_SD_EESD_SD_EENS9_6detail15normal_iteratorINS9_10device_ptrIiEEEESK_iNS9_4plusIvEENS9_8equal_toIvEEiEE10hipError_tPvRmT2_T3_T4_T5_mT6_T7_P12ihipStream_tbENKUlT_T0_E_clISt17integral_constantIbLb1EES15_EEDaS10_S11_EUlS10_E_NS1_11comp_targetILNS1_3genE4ELNS1_11target_archE910ELNS1_3gpuE8ELNS1_3repE0EEENS1_30default_config_static_selectorELNS0_4arch9wavefront6targetE0EEEvT1_
                                        ; -- End function
	.set _ZN7rocprim17ROCPRIM_400000_NS6detail17trampoline_kernelINS0_14default_configENS1_27scan_by_key_config_selectorImiEEZZNS1_16scan_by_key_implILNS1_25lookback_scan_determinismE0ELb0ES3_N6thrust23THRUST_200600_302600_NS18transform_iteratorI9row_indexNS9_17counting_iteratorImNS9_11use_defaultESD_SD_EESD_SD_EENS9_6detail15normal_iteratorINS9_10device_ptrIiEEEESK_iNS9_4plusIvEENS9_8equal_toIvEEiEE10hipError_tPvRmT2_T3_T4_T5_mT6_T7_P12ihipStream_tbENKUlT_T0_E_clISt17integral_constantIbLb1EES15_EEDaS10_S11_EUlS10_E_NS1_11comp_targetILNS1_3genE4ELNS1_11target_archE910ELNS1_3gpuE8ELNS1_3repE0EEENS1_30default_config_static_selectorELNS0_4arch9wavefront6targetE0EEEvT1_.num_vgpr, 0
	.set _ZN7rocprim17ROCPRIM_400000_NS6detail17trampoline_kernelINS0_14default_configENS1_27scan_by_key_config_selectorImiEEZZNS1_16scan_by_key_implILNS1_25lookback_scan_determinismE0ELb0ES3_N6thrust23THRUST_200600_302600_NS18transform_iteratorI9row_indexNS9_17counting_iteratorImNS9_11use_defaultESD_SD_EESD_SD_EENS9_6detail15normal_iteratorINS9_10device_ptrIiEEEESK_iNS9_4plusIvEENS9_8equal_toIvEEiEE10hipError_tPvRmT2_T3_T4_T5_mT6_T7_P12ihipStream_tbENKUlT_T0_E_clISt17integral_constantIbLb1EES15_EEDaS10_S11_EUlS10_E_NS1_11comp_targetILNS1_3genE4ELNS1_11target_archE910ELNS1_3gpuE8ELNS1_3repE0EEENS1_30default_config_static_selectorELNS0_4arch9wavefront6targetE0EEEvT1_.num_agpr, 0
	.set _ZN7rocprim17ROCPRIM_400000_NS6detail17trampoline_kernelINS0_14default_configENS1_27scan_by_key_config_selectorImiEEZZNS1_16scan_by_key_implILNS1_25lookback_scan_determinismE0ELb0ES3_N6thrust23THRUST_200600_302600_NS18transform_iteratorI9row_indexNS9_17counting_iteratorImNS9_11use_defaultESD_SD_EESD_SD_EENS9_6detail15normal_iteratorINS9_10device_ptrIiEEEESK_iNS9_4plusIvEENS9_8equal_toIvEEiEE10hipError_tPvRmT2_T3_T4_T5_mT6_T7_P12ihipStream_tbENKUlT_T0_E_clISt17integral_constantIbLb1EES15_EEDaS10_S11_EUlS10_E_NS1_11comp_targetILNS1_3genE4ELNS1_11target_archE910ELNS1_3gpuE8ELNS1_3repE0EEENS1_30default_config_static_selectorELNS0_4arch9wavefront6targetE0EEEvT1_.numbered_sgpr, 0
	.set _ZN7rocprim17ROCPRIM_400000_NS6detail17trampoline_kernelINS0_14default_configENS1_27scan_by_key_config_selectorImiEEZZNS1_16scan_by_key_implILNS1_25lookback_scan_determinismE0ELb0ES3_N6thrust23THRUST_200600_302600_NS18transform_iteratorI9row_indexNS9_17counting_iteratorImNS9_11use_defaultESD_SD_EESD_SD_EENS9_6detail15normal_iteratorINS9_10device_ptrIiEEEESK_iNS9_4plusIvEENS9_8equal_toIvEEiEE10hipError_tPvRmT2_T3_T4_T5_mT6_T7_P12ihipStream_tbENKUlT_T0_E_clISt17integral_constantIbLb1EES15_EEDaS10_S11_EUlS10_E_NS1_11comp_targetILNS1_3genE4ELNS1_11target_archE910ELNS1_3gpuE8ELNS1_3repE0EEENS1_30default_config_static_selectorELNS0_4arch9wavefront6targetE0EEEvT1_.num_named_barrier, 0
	.set _ZN7rocprim17ROCPRIM_400000_NS6detail17trampoline_kernelINS0_14default_configENS1_27scan_by_key_config_selectorImiEEZZNS1_16scan_by_key_implILNS1_25lookback_scan_determinismE0ELb0ES3_N6thrust23THRUST_200600_302600_NS18transform_iteratorI9row_indexNS9_17counting_iteratorImNS9_11use_defaultESD_SD_EESD_SD_EENS9_6detail15normal_iteratorINS9_10device_ptrIiEEEESK_iNS9_4plusIvEENS9_8equal_toIvEEiEE10hipError_tPvRmT2_T3_T4_T5_mT6_T7_P12ihipStream_tbENKUlT_T0_E_clISt17integral_constantIbLb1EES15_EEDaS10_S11_EUlS10_E_NS1_11comp_targetILNS1_3genE4ELNS1_11target_archE910ELNS1_3gpuE8ELNS1_3repE0EEENS1_30default_config_static_selectorELNS0_4arch9wavefront6targetE0EEEvT1_.private_seg_size, 0
	.set _ZN7rocprim17ROCPRIM_400000_NS6detail17trampoline_kernelINS0_14default_configENS1_27scan_by_key_config_selectorImiEEZZNS1_16scan_by_key_implILNS1_25lookback_scan_determinismE0ELb0ES3_N6thrust23THRUST_200600_302600_NS18transform_iteratorI9row_indexNS9_17counting_iteratorImNS9_11use_defaultESD_SD_EESD_SD_EENS9_6detail15normal_iteratorINS9_10device_ptrIiEEEESK_iNS9_4plusIvEENS9_8equal_toIvEEiEE10hipError_tPvRmT2_T3_T4_T5_mT6_T7_P12ihipStream_tbENKUlT_T0_E_clISt17integral_constantIbLb1EES15_EEDaS10_S11_EUlS10_E_NS1_11comp_targetILNS1_3genE4ELNS1_11target_archE910ELNS1_3gpuE8ELNS1_3repE0EEENS1_30default_config_static_selectorELNS0_4arch9wavefront6targetE0EEEvT1_.uses_vcc, 0
	.set _ZN7rocprim17ROCPRIM_400000_NS6detail17trampoline_kernelINS0_14default_configENS1_27scan_by_key_config_selectorImiEEZZNS1_16scan_by_key_implILNS1_25lookback_scan_determinismE0ELb0ES3_N6thrust23THRUST_200600_302600_NS18transform_iteratorI9row_indexNS9_17counting_iteratorImNS9_11use_defaultESD_SD_EESD_SD_EENS9_6detail15normal_iteratorINS9_10device_ptrIiEEEESK_iNS9_4plusIvEENS9_8equal_toIvEEiEE10hipError_tPvRmT2_T3_T4_T5_mT6_T7_P12ihipStream_tbENKUlT_T0_E_clISt17integral_constantIbLb1EES15_EEDaS10_S11_EUlS10_E_NS1_11comp_targetILNS1_3genE4ELNS1_11target_archE910ELNS1_3gpuE8ELNS1_3repE0EEENS1_30default_config_static_selectorELNS0_4arch9wavefront6targetE0EEEvT1_.uses_flat_scratch, 0
	.set _ZN7rocprim17ROCPRIM_400000_NS6detail17trampoline_kernelINS0_14default_configENS1_27scan_by_key_config_selectorImiEEZZNS1_16scan_by_key_implILNS1_25lookback_scan_determinismE0ELb0ES3_N6thrust23THRUST_200600_302600_NS18transform_iteratorI9row_indexNS9_17counting_iteratorImNS9_11use_defaultESD_SD_EESD_SD_EENS9_6detail15normal_iteratorINS9_10device_ptrIiEEEESK_iNS9_4plusIvEENS9_8equal_toIvEEiEE10hipError_tPvRmT2_T3_T4_T5_mT6_T7_P12ihipStream_tbENKUlT_T0_E_clISt17integral_constantIbLb1EES15_EEDaS10_S11_EUlS10_E_NS1_11comp_targetILNS1_3genE4ELNS1_11target_archE910ELNS1_3gpuE8ELNS1_3repE0EEENS1_30default_config_static_selectorELNS0_4arch9wavefront6targetE0EEEvT1_.has_dyn_sized_stack, 0
	.set _ZN7rocprim17ROCPRIM_400000_NS6detail17trampoline_kernelINS0_14default_configENS1_27scan_by_key_config_selectorImiEEZZNS1_16scan_by_key_implILNS1_25lookback_scan_determinismE0ELb0ES3_N6thrust23THRUST_200600_302600_NS18transform_iteratorI9row_indexNS9_17counting_iteratorImNS9_11use_defaultESD_SD_EESD_SD_EENS9_6detail15normal_iteratorINS9_10device_ptrIiEEEESK_iNS9_4plusIvEENS9_8equal_toIvEEiEE10hipError_tPvRmT2_T3_T4_T5_mT6_T7_P12ihipStream_tbENKUlT_T0_E_clISt17integral_constantIbLb1EES15_EEDaS10_S11_EUlS10_E_NS1_11comp_targetILNS1_3genE4ELNS1_11target_archE910ELNS1_3gpuE8ELNS1_3repE0EEENS1_30default_config_static_selectorELNS0_4arch9wavefront6targetE0EEEvT1_.has_recursion, 0
	.set _ZN7rocprim17ROCPRIM_400000_NS6detail17trampoline_kernelINS0_14default_configENS1_27scan_by_key_config_selectorImiEEZZNS1_16scan_by_key_implILNS1_25lookback_scan_determinismE0ELb0ES3_N6thrust23THRUST_200600_302600_NS18transform_iteratorI9row_indexNS9_17counting_iteratorImNS9_11use_defaultESD_SD_EESD_SD_EENS9_6detail15normal_iteratorINS9_10device_ptrIiEEEESK_iNS9_4plusIvEENS9_8equal_toIvEEiEE10hipError_tPvRmT2_T3_T4_T5_mT6_T7_P12ihipStream_tbENKUlT_T0_E_clISt17integral_constantIbLb1EES15_EEDaS10_S11_EUlS10_E_NS1_11comp_targetILNS1_3genE4ELNS1_11target_archE910ELNS1_3gpuE8ELNS1_3repE0EEENS1_30default_config_static_selectorELNS0_4arch9wavefront6targetE0EEEvT1_.has_indirect_call, 0
	.section	.AMDGPU.csdata,"",@progbits
; Kernel info:
; codeLenInByte = 0
; TotalNumSgprs: 0
; NumVgprs: 0
; ScratchSize: 0
; MemoryBound: 0
; FloatMode: 240
; IeeeMode: 1
; LDSByteSize: 0 bytes/workgroup (compile time only)
; SGPRBlocks: 0
; VGPRBlocks: 0
; NumSGPRsForWavesPerEU: 1
; NumVGPRsForWavesPerEU: 1
; Occupancy: 16
; WaveLimiterHint : 0
; COMPUTE_PGM_RSRC2:SCRATCH_EN: 0
; COMPUTE_PGM_RSRC2:USER_SGPR: 6
; COMPUTE_PGM_RSRC2:TRAP_HANDLER: 0
; COMPUTE_PGM_RSRC2:TGID_X_EN: 1
; COMPUTE_PGM_RSRC2:TGID_Y_EN: 0
; COMPUTE_PGM_RSRC2:TGID_Z_EN: 0
; COMPUTE_PGM_RSRC2:TIDIG_COMP_CNT: 0
	.section	.text._ZN7rocprim17ROCPRIM_400000_NS6detail17trampoline_kernelINS0_14default_configENS1_27scan_by_key_config_selectorImiEEZZNS1_16scan_by_key_implILNS1_25lookback_scan_determinismE0ELb0ES3_N6thrust23THRUST_200600_302600_NS18transform_iteratorI9row_indexNS9_17counting_iteratorImNS9_11use_defaultESD_SD_EESD_SD_EENS9_6detail15normal_iteratorINS9_10device_ptrIiEEEESK_iNS9_4plusIvEENS9_8equal_toIvEEiEE10hipError_tPvRmT2_T3_T4_T5_mT6_T7_P12ihipStream_tbENKUlT_T0_E_clISt17integral_constantIbLb1EES15_EEDaS10_S11_EUlS10_E_NS1_11comp_targetILNS1_3genE3ELNS1_11target_archE908ELNS1_3gpuE7ELNS1_3repE0EEENS1_30default_config_static_selectorELNS0_4arch9wavefront6targetE0EEEvT1_,"axG",@progbits,_ZN7rocprim17ROCPRIM_400000_NS6detail17trampoline_kernelINS0_14default_configENS1_27scan_by_key_config_selectorImiEEZZNS1_16scan_by_key_implILNS1_25lookback_scan_determinismE0ELb0ES3_N6thrust23THRUST_200600_302600_NS18transform_iteratorI9row_indexNS9_17counting_iteratorImNS9_11use_defaultESD_SD_EESD_SD_EENS9_6detail15normal_iteratorINS9_10device_ptrIiEEEESK_iNS9_4plusIvEENS9_8equal_toIvEEiEE10hipError_tPvRmT2_T3_T4_T5_mT6_T7_P12ihipStream_tbENKUlT_T0_E_clISt17integral_constantIbLb1EES15_EEDaS10_S11_EUlS10_E_NS1_11comp_targetILNS1_3genE3ELNS1_11target_archE908ELNS1_3gpuE7ELNS1_3repE0EEENS1_30default_config_static_selectorELNS0_4arch9wavefront6targetE0EEEvT1_,comdat
	.protected	_ZN7rocprim17ROCPRIM_400000_NS6detail17trampoline_kernelINS0_14default_configENS1_27scan_by_key_config_selectorImiEEZZNS1_16scan_by_key_implILNS1_25lookback_scan_determinismE0ELb0ES3_N6thrust23THRUST_200600_302600_NS18transform_iteratorI9row_indexNS9_17counting_iteratorImNS9_11use_defaultESD_SD_EESD_SD_EENS9_6detail15normal_iteratorINS9_10device_ptrIiEEEESK_iNS9_4plusIvEENS9_8equal_toIvEEiEE10hipError_tPvRmT2_T3_T4_T5_mT6_T7_P12ihipStream_tbENKUlT_T0_E_clISt17integral_constantIbLb1EES15_EEDaS10_S11_EUlS10_E_NS1_11comp_targetILNS1_3genE3ELNS1_11target_archE908ELNS1_3gpuE7ELNS1_3repE0EEENS1_30default_config_static_selectorELNS0_4arch9wavefront6targetE0EEEvT1_ ; -- Begin function _ZN7rocprim17ROCPRIM_400000_NS6detail17trampoline_kernelINS0_14default_configENS1_27scan_by_key_config_selectorImiEEZZNS1_16scan_by_key_implILNS1_25lookback_scan_determinismE0ELb0ES3_N6thrust23THRUST_200600_302600_NS18transform_iteratorI9row_indexNS9_17counting_iteratorImNS9_11use_defaultESD_SD_EESD_SD_EENS9_6detail15normal_iteratorINS9_10device_ptrIiEEEESK_iNS9_4plusIvEENS9_8equal_toIvEEiEE10hipError_tPvRmT2_T3_T4_T5_mT6_T7_P12ihipStream_tbENKUlT_T0_E_clISt17integral_constantIbLb1EES15_EEDaS10_S11_EUlS10_E_NS1_11comp_targetILNS1_3genE3ELNS1_11target_archE908ELNS1_3gpuE7ELNS1_3repE0EEENS1_30default_config_static_selectorELNS0_4arch9wavefront6targetE0EEEvT1_
	.globl	_ZN7rocprim17ROCPRIM_400000_NS6detail17trampoline_kernelINS0_14default_configENS1_27scan_by_key_config_selectorImiEEZZNS1_16scan_by_key_implILNS1_25lookback_scan_determinismE0ELb0ES3_N6thrust23THRUST_200600_302600_NS18transform_iteratorI9row_indexNS9_17counting_iteratorImNS9_11use_defaultESD_SD_EESD_SD_EENS9_6detail15normal_iteratorINS9_10device_ptrIiEEEESK_iNS9_4plusIvEENS9_8equal_toIvEEiEE10hipError_tPvRmT2_T3_T4_T5_mT6_T7_P12ihipStream_tbENKUlT_T0_E_clISt17integral_constantIbLb1EES15_EEDaS10_S11_EUlS10_E_NS1_11comp_targetILNS1_3genE3ELNS1_11target_archE908ELNS1_3gpuE7ELNS1_3repE0EEENS1_30default_config_static_selectorELNS0_4arch9wavefront6targetE0EEEvT1_
	.p2align	8
	.type	_ZN7rocprim17ROCPRIM_400000_NS6detail17trampoline_kernelINS0_14default_configENS1_27scan_by_key_config_selectorImiEEZZNS1_16scan_by_key_implILNS1_25lookback_scan_determinismE0ELb0ES3_N6thrust23THRUST_200600_302600_NS18transform_iteratorI9row_indexNS9_17counting_iteratorImNS9_11use_defaultESD_SD_EESD_SD_EENS9_6detail15normal_iteratorINS9_10device_ptrIiEEEESK_iNS9_4plusIvEENS9_8equal_toIvEEiEE10hipError_tPvRmT2_T3_T4_T5_mT6_T7_P12ihipStream_tbENKUlT_T0_E_clISt17integral_constantIbLb1EES15_EEDaS10_S11_EUlS10_E_NS1_11comp_targetILNS1_3genE3ELNS1_11target_archE908ELNS1_3gpuE7ELNS1_3repE0EEENS1_30default_config_static_selectorELNS0_4arch9wavefront6targetE0EEEvT1_,@function
_ZN7rocprim17ROCPRIM_400000_NS6detail17trampoline_kernelINS0_14default_configENS1_27scan_by_key_config_selectorImiEEZZNS1_16scan_by_key_implILNS1_25lookback_scan_determinismE0ELb0ES3_N6thrust23THRUST_200600_302600_NS18transform_iteratorI9row_indexNS9_17counting_iteratorImNS9_11use_defaultESD_SD_EESD_SD_EENS9_6detail15normal_iteratorINS9_10device_ptrIiEEEESK_iNS9_4plusIvEENS9_8equal_toIvEEiEE10hipError_tPvRmT2_T3_T4_T5_mT6_T7_P12ihipStream_tbENKUlT_T0_E_clISt17integral_constantIbLb1EES15_EEDaS10_S11_EUlS10_E_NS1_11comp_targetILNS1_3genE3ELNS1_11target_archE908ELNS1_3gpuE7ELNS1_3repE0EEENS1_30default_config_static_selectorELNS0_4arch9wavefront6targetE0EEEvT1_: ; @_ZN7rocprim17ROCPRIM_400000_NS6detail17trampoline_kernelINS0_14default_configENS1_27scan_by_key_config_selectorImiEEZZNS1_16scan_by_key_implILNS1_25lookback_scan_determinismE0ELb0ES3_N6thrust23THRUST_200600_302600_NS18transform_iteratorI9row_indexNS9_17counting_iteratorImNS9_11use_defaultESD_SD_EESD_SD_EENS9_6detail15normal_iteratorINS9_10device_ptrIiEEEESK_iNS9_4plusIvEENS9_8equal_toIvEEiEE10hipError_tPvRmT2_T3_T4_T5_mT6_T7_P12ihipStream_tbENKUlT_T0_E_clISt17integral_constantIbLb1EES15_EEDaS10_S11_EUlS10_E_NS1_11comp_targetILNS1_3genE3ELNS1_11target_archE908ELNS1_3gpuE7ELNS1_3repE0EEENS1_30default_config_static_selectorELNS0_4arch9wavefront6targetE0EEEvT1_
; %bb.0:
	.section	.rodata,"a",@progbits
	.p2align	6, 0x0
	.amdhsa_kernel _ZN7rocprim17ROCPRIM_400000_NS6detail17trampoline_kernelINS0_14default_configENS1_27scan_by_key_config_selectorImiEEZZNS1_16scan_by_key_implILNS1_25lookback_scan_determinismE0ELb0ES3_N6thrust23THRUST_200600_302600_NS18transform_iteratorI9row_indexNS9_17counting_iteratorImNS9_11use_defaultESD_SD_EESD_SD_EENS9_6detail15normal_iteratorINS9_10device_ptrIiEEEESK_iNS9_4plusIvEENS9_8equal_toIvEEiEE10hipError_tPvRmT2_T3_T4_T5_mT6_T7_P12ihipStream_tbENKUlT_T0_E_clISt17integral_constantIbLb1EES15_EEDaS10_S11_EUlS10_E_NS1_11comp_targetILNS1_3genE3ELNS1_11target_archE908ELNS1_3gpuE7ELNS1_3repE0EEENS1_30default_config_static_selectorELNS0_4arch9wavefront6targetE0EEEvT1_
		.amdhsa_group_segment_fixed_size 0
		.amdhsa_private_segment_fixed_size 0
		.amdhsa_kernarg_size 120
		.amdhsa_user_sgpr_count 6
		.amdhsa_user_sgpr_private_segment_buffer 1
		.amdhsa_user_sgpr_dispatch_ptr 0
		.amdhsa_user_sgpr_queue_ptr 0
		.amdhsa_user_sgpr_kernarg_segment_ptr 1
		.amdhsa_user_sgpr_dispatch_id 0
		.amdhsa_user_sgpr_flat_scratch_init 0
		.amdhsa_user_sgpr_private_segment_size 0
		.amdhsa_wavefront_size32 1
		.amdhsa_uses_dynamic_stack 0
		.amdhsa_system_sgpr_private_segment_wavefront_offset 0
		.amdhsa_system_sgpr_workgroup_id_x 1
		.amdhsa_system_sgpr_workgroup_id_y 0
		.amdhsa_system_sgpr_workgroup_id_z 0
		.amdhsa_system_sgpr_workgroup_info 0
		.amdhsa_system_vgpr_workitem_id 0
		.amdhsa_next_free_vgpr 1
		.amdhsa_next_free_sgpr 1
		.amdhsa_reserve_vcc 0
		.amdhsa_reserve_flat_scratch 0
		.amdhsa_float_round_mode_32 0
		.amdhsa_float_round_mode_16_64 0
		.amdhsa_float_denorm_mode_32 3
		.amdhsa_float_denorm_mode_16_64 3
		.amdhsa_dx10_clamp 1
		.amdhsa_ieee_mode 1
		.amdhsa_fp16_overflow 0
		.amdhsa_workgroup_processor_mode 1
		.amdhsa_memory_ordered 1
		.amdhsa_forward_progress 1
		.amdhsa_shared_vgpr_count 0
		.amdhsa_exception_fp_ieee_invalid_op 0
		.amdhsa_exception_fp_denorm_src 0
		.amdhsa_exception_fp_ieee_div_zero 0
		.amdhsa_exception_fp_ieee_overflow 0
		.amdhsa_exception_fp_ieee_underflow 0
		.amdhsa_exception_fp_ieee_inexact 0
		.amdhsa_exception_int_div_zero 0
	.end_amdhsa_kernel
	.section	.text._ZN7rocprim17ROCPRIM_400000_NS6detail17trampoline_kernelINS0_14default_configENS1_27scan_by_key_config_selectorImiEEZZNS1_16scan_by_key_implILNS1_25lookback_scan_determinismE0ELb0ES3_N6thrust23THRUST_200600_302600_NS18transform_iteratorI9row_indexNS9_17counting_iteratorImNS9_11use_defaultESD_SD_EESD_SD_EENS9_6detail15normal_iteratorINS9_10device_ptrIiEEEESK_iNS9_4plusIvEENS9_8equal_toIvEEiEE10hipError_tPvRmT2_T3_T4_T5_mT6_T7_P12ihipStream_tbENKUlT_T0_E_clISt17integral_constantIbLb1EES15_EEDaS10_S11_EUlS10_E_NS1_11comp_targetILNS1_3genE3ELNS1_11target_archE908ELNS1_3gpuE7ELNS1_3repE0EEENS1_30default_config_static_selectorELNS0_4arch9wavefront6targetE0EEEvT1_,"axG",@progbits,_ZN7rocprim17ROCPRIM_400000_NS6detail17trampoline_kernelINS0_14default_configENS1_27scan_by_key_config_selectorImiEEZZNS1_16scan_by_key_implILNS1_25lookback_scan_determinismE0ELb0ES3_N6thrust23THRUST_200600_302600_NS18transform_iteratorI9row_indexNS9_17counting_iteratorImNS9_11use_defaultESD_SD_EESD_SD_EENS9_6detail15normal_iteratorINS9_10device_ptrIiEEEESK_iNS9_4plusIvEENS9_8equal_toIvEEiEE10hipError_tPvRmT2_T3_T4_T5_mT6_T7_P12ihipStream_tbENKUlT_T0_E_clISt17integral_constantIbLb1EES15_EEDaS10_S11_EUlS10_E_NS1_11comp_targetILNS1_3genE3ELNS1_11target_archE908ELNS1_3gpuE7ELNS1_3repE0EEENS1_30default_config_static_selectorELNS0_4arch9wavefront6targetE0EEEvT1_,comdat
.Lfunc_end18:
	.size	_ZN7rocprim17ROCPRIM_400000_NS6detail17trampoline_kernelINS0_14default_configENS1_27scan_by_key_config_selectorImiEEZZNS1_16scan_by_key_implILNS1_25lookback_scan_determinismE0ELb0ES3_N6thrust23THRUST_200600_302600_NS18transform_iteratorI9row_indexNS9_17counting_iteratorImNS9_11use_defaultESD_SD_EESD_SD_EENS9_6detail15normal_iteratorINS9_10device_ptrIiEEEESK_iNS9_4plusIvEENS9_8equal_toIvEEiEE10hipError_tPvRmT2_T3_T4_T5_mT6_T7_P12ihipStream_tbENKUlT_T0_E_clISt17integral_constantIbLb1EES15_EEDaS10_S11_EUlS10_E_NS1_11comp_targetILNS1_3genE3ELNS1_11target_archE908ELNS1_3gpuE7ELNS1_3repE0EEENS1_30default_config_static_selectorELNS0_4arch9wavefront6targetE0EEEvT1_, .Lfunc_end18-_ZN7rocprim17ROCPRIM_400000_NS6detail17trampoline_kernelINS0_14default_configENS1_27scan_by_key_config_selectorImiEEZZNS1_16scan_by_key_implILNS1_25lookback_scan_determinismE0ELb0ES3_N6thrust23THRUST_200600_302600_NS18transform_iteratorI9row_indexNS9_17counting_iteratorImNS9_11use_defaultESD_SD_EESD_SD_EENS9_6detail15normal_iteratorINS9_10device_ptrIiEEEESK_iNS9_4plusIvEENS9_8equal_toIvEEiEE10hipError_tPvRmT2_T3_T4_T5_mT6_T7_P12ihipStream_tbENKUlT_T0_E_clISt17integral_constantIbLb1EES15_EEDaS10_S11_EUlS10_E_NS1_11comp_targetILNS1_3genE3ELNS1_11target_archE908ELNS1_3gpuE7ELNS1_3repE0EEENS1_30default_config_static_selectorELNS0_4arch9wavefront6targetE0EEEvT1_
                                        ; -- End function
	.set _ZN7rocprim17ROCPRIM_400000_NS6detail17trampoline_kernelINS0_14default_configENS1_27scan_by_key_config_selectorImiEEZZNS1_16scan_by_key_implILNS1_25lookback_scan_determinismE0ELb0ES3_N6thrust23THRUST_200600_302600_NS18transform_iteratorI9row_indexNS9_17counting_iteratorImNS9_11use_defaultESD_SD_EESD_SD_EENS9_6detail15normal_iteratorINS9_10device_ptrIiEEEESK_iNS9_4plusIvEENS9_8equal_toIvEEiEE10hipError_tPvRmT2_T3_T4_T5_mT6_T7_P12ihipStream_tbENKUlT_T0_E_clISt17integral_constantIbLb1EES15_EEDaS10_S11_EUlS10_E_NS1_11comp_targetILNS1_3genE3ELNS1_11target_archE908ELNS1_3gpuE7ELNS1_3repE0EEENS1_30default_config_static_selectorELNS0_4arch9wavefront6targetE0EEEvT1_.num_vgpr, 0
	.set _ZN7rocprim17ROCPRIM_400000_NS6detail17trampoline_kernelINS0_14default_configENS1_27scan_by_key_config_selectorImiEEZZNS1_16scan_by_key_implILNS1_25lookback_scan_determinismE0ELb0ES3_N6thrust23THRUST_200600_302600_NS18transform_iteratorI9row_indexNS9_17counting_iteratorImNS9_11use_defaultESD_SD_EESD_SD_EENS9_6detail15normal_iteratorINS9_10device_ptrIiEEEESK_iNS9_4plusIvEENS9_8equal_toIvEEiEE10hipError_tPvRmT2_T3_T4_T5_mT6_T7_P12ihipStream_tbENKUlT_T0_E_clISt17integral_constantIbLb1EES15_EEDaS10_S11_EUlS10_E_NS1_11comp_targetILNS1_3genE3ELNS1_11target_archE908ELNS1_3gpuE7ELNS1_3repE0EEENS1_30default_config_static_selectorELNS0_4arch9wavefront6targetE0EEEvT1_.num_agpr, 0
	.set _ZN7rocprim17ROCPRIM_400000_NS6detail17trampoline_kernelINS0_14default_configENS1_27scan_by_key_config_selectorImiEEZZNS1_16scan_by_key_implILNS1_25lookback_scan_determinismE0ELb0ES3_N6thrust23THRUST_200600_302600_NS18transform_iteratorI9row_indexNS9_17counting_iteratorImNS9_11use_defaultESD_SD_EESD_SD_EENS9_6detail15normal_iteratorINS9_10device_ptrIiEEEESK_iNS9_4plusIvEENS9_8equal_toIvEEiEE10hipError_tPvRmT2_T3_T4_T5_mT6_T7_P12ihipStream_tbENKUlT_T0_E_clISt17integral_constantIbLb1EES15_EEDaS10_S11_EUlS10_E_NS1_11comp_targetILNS1_3genE3ELNS1_11target_archE908ELNS1_3gpuE7ELNS1_3repE0EEENS1_30default_config_static_selectorELNS0_4arch9wavefront6targetE0EEEvT1_.numbered_sgpr, 0
	.set _ZN7rocprim17ROCPRIM_400000_NS6detail17trampoline_kernelINS0_14default_configENS1_27scan_by_key_config_selectorImiEEZZNS1_16scan_by_key_implILNS1_25lookback_scan_determinismE0ELb0ES3_N6thrust23THRUST_200600_302600_NS18transform_iteratorI9row_indexNS9_17counting_iteratorImNS9_11use_defaultESD_SD_EESD_SD_EENS9_6detail15normal_iteratorINS9_10device_ptrIiEEEESK_iNS9_4plusIvEENS9_8equal_toIvEEiEE10hipError_tPvRmT2_T3_T4_T5_mT6_T7_P12ihipStream_tbENKUlT_T0_E_clISt17integral_constantIbLb1EES15_EEDaS10_S11_EUlS10_E_NS1_11comp_targetILNS1_3genE3ELNS1_11target_archE908ELNS1_3gpuE7ELNS1_3repE0EEENS1_30default_config_static_selectorELNS0_4arch9wavefront6targetE0EEEvT1_.num_named_barrier, 0
	.set _ZN7rocprim17ROCPRIM_400000_NS6detail17trampoline_kernelINS0_14default_configENS1_27scan_by_key_config_selectorImiEEZZNS1_16scan_by_key_implILNS1_25lookback_scan_determinismE0ELb0ES3_N6thrust23THRUST_200600_302600_NS18transform_iteratorI9row_indexNS9_17counting_iteratorImNS9_11use_defaultESD_SD_EESD_SD_EENS9_6detail15normal_iteratorINS9_10device_ptrIiEEEESK_iNS9_4plusIvEENS9_8equal_toIvEEiEE10hipError_tPvRmT2_T3_T4_T5_mT6_T7_P12ihipStream_tbENKUlT_T0_E_clISt17integral_constantIbLb1EES15_EEDaS10_S11_EUlS10_E_NS1_11comp_targetILNS1_3genE3ELNS1_11target_archE908ELNS1_3gpuE7ELNS1_3repE0EEENS1_30default_config_static_selectorELNS0_4arch9wavefront6targetE0EEEvT1_.private_seg_size, 0
	.set _ZN7rocprim17ROCPRIM_400000_NS6detail17trampoline_kernelINS0_14default_configENS1_27scan_by_key_config_selectorImiEEZZNS1_16scan_by_key_implILNS1_25lookback_scan_determinismE0ELb0ES3_N6thrust23THRUST_200600_302600_NS18transform_iteratorI9row_indexNS9_17counting_iteratorImNS9_11use_defaultESD_SD_EESD_SD_EENS9_6detail15normal_iteratorINS9_10device_ptrIiEEEESK_iNS9_4plusIvEENS9_8equal_toIvEEiEE10hipError_tPvRmT2_T3_T4_T5_mT6_T7_P12ihipStream_tbENKUlT_T0_E_clISt17integral_constantIbLb1EES15_EEDaS10_S11_EUlS10_E_NS1_11comp_targetILNS1_3genE3ELNS1_11target_archE908ELNS1_3gpuE7ELNS1_3repE0EEENS1_30default_config_static_selectorELNS0_4arch9wavefront6targetE0EEEvT1_.uses_vcc, 0
	.set _ZN7rocprim17ROCPRIM_400000_NS6detail17trampoline_kernelINS0_14default_configENS1_27scan_by_key_config_selectorImiEEZZNS1_16scan_by_key_implILNS1_25lookback_scan_determinismE0ELb0ES3_N6thrust23THRUST_200600_302600_NS18transform_iteratorI9row_indexNS9_17counting_iteratorImNS9_11use_defaultESD_SD_EESD_SD_EENS9_6detail15normal_iteratorINS9_10device_ptrIiEEEESK_iNS9_4plusIvEENS9_8equal_toIvEEiEE10hipError_tPvRmT2_T3_T4_T5_mT6_T7_P12ihipStream_tbENKUlT_T0_E_clISt17integral_constantIbLb1EES15_EEDaS10_S11_EUlS10_E_NS1_11comp_targetILNS1_3genE3ELNS1_11target_archE908ELNS1_3gpuE7ELNS1_3repE0EEENS1_30default_config_static_selectorELNS0_4arch9wavefront6targetE0EEEvT1_.uses_flat_scratch, 0
	.set _ZN7rocprim17ROCPRIM_400000_NS6detail17trampoline_kernelINS0_14default_configENS1_27scan_by_key_config_selectorImiEEZZNS1_16scan_by_key_implILNS1_25lookback_scan_determinismE0ELb0ES3_N6thrust23THRUST_200600_302600_NS18transform_iteratorI9row_indexNS9_17counting_iteratorImNS9_11use_defaultESD_SD_EESD_SD_EENS9_6detail15normal_iteratorINS9_10device_ptrIiEEEESK_iNS9_4plusIvEENS9_8equal_toIvEEiEE10hipError_tPvRmT2_T3_T4_T5_mT6_T7_P12ihipStream_tbENKUlT_T0_E_clISt17integral_constantIbLb1EES15_EEDaS10_S11_EUlS10_E_NS1_11comp_targetILNS1_3genE3ELNS1_11target_archE908ELNS1_3gpuE7ELNS1_3repE0EEENS1_30default_config_static_selectorELNS0_4arch9wavefront6targetE0EEEvT1_.has_dyn_sized_stack, 0
	.set _ZN7rocprim17ROCPRIM_400000_NS6detail17trampoline_kernelINS0_14default_configENS1_27scan_by_key_config_selectorImiEEZZNS1_16scan_by_key_implILNS1_25lookback_scan_determinismE0ELb0ES3_N6thrust23THRUST_200600_302600_NS18transform_iteratorI9row_indexNS9_17counting_iteratorImNS9_11use_defaultESD_SD_EESD_SD_EENS9_6detail15normal_iteratorINS9_10device_ptrIiEEEESK_iNS9_4plusIvEENS9_8equal_toIvEEiEE10hipError_tPvRmT2_T3_T4_T5_mT6_T7_P12ihipStream_tbENKUlT_T0_E_clISt17integral_constantIbLb1EES15_EEDaS10_S11_EUlS10_E_NS1_11comp_targetILNS1_3genE3ELNS1_11target_archE908ELNS1_3gpuE7ELNS1_3repE0EEENS1_30default_config_static_selectorELNS0_4arch9wavefront6targetE0EEEvT1_.has_recursion, 0
	.set _ZN7rocprim17ROCPRIM_400000_NS6detail17trampoline_kernelINS0_14default_configENS1_27scan_by_key_config_selectorImiEEZZNS1_16scan_by_key_implILNS1_25lookback_scan_determinismE0ELb0ES3_N6thrust23THRUST_200600_302600_NS18transform_iteratorI9row_indexNS9_17counting_iteratorImNS9_11use_defaultESD_SD_EESD_SD_EENS9_6detail15normal_iteratorINS9_10device_ptrIiEEEESK_iNS9_4plusIvEENS9_8equal_toIvEEiEE10hipError_tPvRmT2_T3_T4_T5_mT6_T7_P12ihipStream_tbENKUlT_T0_E_clISt17integral_constantIbLb1EES15_EEDaS10_S11_EUlS10_E_NS1_11comp_targetILNS1_3genE3ELNS1_11target_archE908ELNS1_3gpuE7ELNS1_3repE0EEENS1_30default_config_static_selectorELNS0_4arch9wavefront6targetE0EEEvT1_.has_indirect_call, 0
	.section	.AMDGPU.csdata,"",@progbits
; Kernel info:
; codeLenInByte = 0
; TotalNumSgprs: 0
; NumVgprs: 0
; ScratchSize: 0
; MemoryBound: 0
; FloatMode: 240
; IeeeMode: 1
; LDSByteSize: 0 bytes/workgroup (compile time only)
; SGPRBlocks: 0
; VGPRBlocks: 0
; NumSGPRsForWavesPerEU: 1
; NumVGPRsForWavesPerEU: 1
; Occupancy: 16
; WaveLimiterHint : 0
; COMPUTE_PGM_RSRC2:SCRATCH_EN: 0
; COMPUTE_PGM_RSRC2:USER_SGPR: 6
; COMPUTE_PGM_RSRC2:TRAP_HANDLER: 0
; COMPUTE_PGM_RSRC2:TGID_X_EN: 1
; COMPUTE_PGM_RSRC2:TGID_Y_EN: 0
; COMPUTE_PGM_RSRC2:TGID_Z_EN: 0
; COMPUTE_PGM_RSRC2:TIDIG_COMP_CNT: 0
	.section	.text._ZN7rocprim17ROCPRIM_400000_NS6detail17trampoline_kernelINS0_14default_configENS1_27scan_by_key_config_selectorImiEEZZNS1_16scan_by_key_implILNS1_25lookback_scan_determinismE0ELb0ES3_N6thrust23THRUST_200600_302600_NS18transform_iteratorI9row_indexNS9_17counting_iteratorImNS9_11use_defaultESD_SD_EESD_SD_EENS9_6detail15normal_iteratorINS9_10device_ptrIiEEEESK_iNS9_4plusIvEENS9_8equal_toIvEEiEE10hipError_tPvRmT2_T3_T4_T5_mT6_T7_P12ihipStream_tbENKUlT_T0_E_clISt17integral_constantIbLb1EES15_EEDaS10_S11_EUlS10_E_NS1_11comp_targetILNS1_3genE2ELNS1_11target_archE906ELNS1_3gpuE6ELNS1_3repE0EEENS1_30default_config_static_selectorELNS0_4arch9wavefront6targetE0EEEvT1_,"axG",@progbits,_ZN7rocprim17ROCPRIM_400000_NS6detail17trampoline_kernelINS0_14default_configENS1_27scan_by_key_config_selectorImiEEZZNS1_16scan_by_key_implILNS1_25lookback_scan_determinismE0ELb0ES3_N6thrust23THRUST_200600_302600_NS18transform_iteratorI9row_indexNS9_17counting_iteratorImNS9_11use_defaultESD_SD_EESD_SD_EENS9_6detail15normal_iteratorINS9_10device_ptrIiEEEESK_iNS9_4plusIvEENS9_8equal_toIvEEiEE10hipError_tPvRmT2_T3_T4_T5_mT6_T7_P12ihipStream_tbENKUlT_T0_E_clISt17integral_constantIbLb1EES15_EEDaS10_S11_EUlS10_E_NS1_11comp_targetILNS1_3genE2ELNS1_11target_archE906ELNS1_3gpuE6ELNS1_3repE0EEENS1_30default_config_static_selectorELNS0_4arch9wavefront6targetE0EEEvT1_,comdat
	.protected	_ZN7rocprim17ROCPRIM_400000_NS6detail17trampoline_kernelINS0_14default_configENS1_27scan_by_key_config_selectorImiEEZZNS1_16scan_by_key_implILNS1_25lookback_scan_determinismE0ELb0ES3_N6thrust23THRUST_200600_302600_NS18transform_iteratorI9row_indexNS9_17counting_iteratorImNS9_11use_defaultESD_SD_EESD_SD_EENS9_6detail15normal_iteratorINS9_10device_ptrIiEEEESK_iNS9_4plusIvEENS9_8equal_toIvEEiEE10hipError_tPvRmT2_T3_T4_T5_mT6_T7_P12ihipStream_tbENKUlT_T0_E_clISt17integral_constantIbLb1EES15_EEDaS10_S11_EUlS10_E_NS1_11comp_targetILNS1_3genE2ELNS1_11target_archE906ELNS1_3gpuE6ELNS1_3repE0EEENS1_30default_config_static_selectorELNS0_4arch9wavefront6targetE0EEEvT1_ ; -- Begin function _ZN7rocprim17ROCPRIM_400000_NS6detail17trampoline_kernelINS0_14default_configENS1_27scan_by_key_config_selectorImiEEZZNS1_16scan_by_key_implILNS1_25lookback_scan_determinismE0ELb0ES3_N6thrust23THRUST_200600_302600_NS18transform_iteratorI9row_indexNS9_17counting_iteratorImNS9_11use_defaultESD_SD_EESD_SD_EENS9_6detail15normal_iteratorINS9_10device_ptrIiEEEESK_iNS9_4plusIvEENS9_8equal_toIvEEiEE10hipError_tPvRmT2_T3_T4_T5_mT6_T7_P12ihipStream_tbENKUlT_T0_E_clISt17integral_constantIbLb1EES15_EEDaS10_S11_EUlS10_E_NS1_11comp_targetILNS1_3genE2ELNS1_11target_archE906ELNS1_3gpuE6ELNS1_3repE0EEENS1_30default_config_static_selectorELNS0_4arch9wavefront6targetE0EEEvT1_
	.globl	_ZN7rocprim17ROCPRIM_400000_NS6detail17trampoline_kernelINS0_14default_configENS1_27scan_by_key_config_selectorImiEEZZNS1_16scan_by_key_implILNS1_25lookback_scan_determinismE0ELb0ES3_N6thrust23THRUST_200600_302600_NS18transform_iteratorI9row_indexNS9_17counting_iteratorImNS9_11use_defaultESD_SD_EESD_SD_EENS9_6detail15normal_iteratorINS9_10device_ptrIiEEEESK_iNS9_4plusIvEENS9_8equal_toIvEEiEE10hipError_tPvRmT2_T3_T4_T5_mT6_T7_P12ihipStream_tbENKUlT_T0_E_clISt17integral_constantIbLb1EES15_EEDaS10_S11_EUlS10_E_NS1_11comp_targetILNS1_3genE2ELNS1_11target_archE906ELNS1_3gpuE6ELNS1_3repE0EEENS1_30default_config_static_selectorELNS0_4arch9wavefront6targetE0EEEvT1_
	.p2align	8
	.type	_ZN7rocprim17ROCPRIM_400000_NS6detail17trampoline_kernelINS0_14default_configENS1_27scan_by_key_config_selectorImiEEZZNS1_16scan_by_key_implILNS1_25lookback_scan_determinismE0ELb0ES3_N6thrust23THRUST_200600_302600_NS18transform_iteratorI9row_indexNS9_17counting_iteratorImNS9_11use_defaultESD_SD_EESD_SD_EENS9_6detail15normal_iteratorINS9_10device_ptrIiEEEESK_iNS9_4plusIvEENS9_8equal_toIvEEiEE10hipError_tPvRmT2_T3_T4_T5_mT6_T7_P12ihipStream_tbENKUlT_T0_E_clISt17integral_constantIbLb1EES15_EEDaS10_S11_EUlS10_E_NS1_11comp_targetILNS1_3genE2ELNS1_11target_archE906ELNS1_3gpuE6ELNS1_3repE0EEENS1_30default_config_static_selectorELNS0_4arch9wavefront6targetE0EEEvT1_,@function
_ZN7rocprim17ROCPRIM_400000_NS6detail17trampoline_kernelINS0_14default_configENS1_27scan_by_key_config_selectorImiEEZZNS1_16scan_by_key_implILNS1_25lookback_scan_determinismE0ELb0ES3_N6thrust23THRUST_200600_302600_NS18transform_iteratorI9row_indexNS9_17counting_iteratorImNS9_11use_defaultESD_SD_EESD_SD_EENS9_6detail15normal_iteratorINS9_10device_ptrIiEEEESK_iNS9_4plusIvEENS9_8equal_toIvEEiEE10hipError_tPvRmT2_T3_T4_T5_mT6_T7_P12ihipStream_tbENKUlT_T0_E_clISt17integral_constantIbLb1EES15_EEDaS10_S11_EUlS10_E_NS1_11comp_targetILNS1_3genE2ELNS1_11target_archE906ELNS1_3gpuE6ELNS1_3repE0EEENS1_30default_config_static_selectorELNS0_4arch9wavefront6targetE0EEEvT1_: ; @_ZN7rocprim17ROCPRIM_400000_NS6detail17trampoline_kernelINS0_14default_configENS1_27scan_by_key_config_selectorImiEEZZNS1_16scan_by_key_implILNS1_25lookback_scan_determinismE0ELb0ES3_N6thrust23THRUST_200600_302600_NS18transform_iteratorI9row_indexNS9_17counting_iteratorImNS9_11use_defaultESD_SD_EESD_SD_EENS9_6detail15normal_iteratorINS9_10device_ptrIiEEEESK_iNS9_4plusIvEENS9_8equal_toIvEEiEE10hipError_tPvRmT2_T3_T4_T5_mT6_T7_P12ihipStream_tbENKUlT_T0_E_clISt17integral_constantIbLb1EES15_EEDaS10_S11_EUlS10_E_NS1_11comp_targetILNS1_3genE2ELNS1_11target_archE906ELNS1_3gpuE6ELNS1_3repE0EEENS1_30default_config_static_selectorELNS0_4arch9wavefront6targetE0EEEvT1_
; %bb.0:
	.section	.rodata,"a",@progbits
	.p2align	6, 0x0
	.amdhsa_kernel _ZN7rocprim17ROCPRIM_400000_NS6detail17trampoline_kernelINS0_14default_configENS1_27scan_by_key_config_selectorImiEEZZNS1_16scan_by_key_implILNS1_25lookback_scan_determinismE0ELb0ES3_N6thrust23THRUST_200600_302600_NS18transform_iteratorI9row_indexNS9_17counting_iteratorImNS9_11use_defaultESD_SD_EESD_SD_EENS9_6detail15normal_iteratorINS9_10device_ptrIiEEEESK_iNS9_4plusIvEENS9_8equal_toIvEEiEE10hipError_tPvRmT2_T3_T4_T5_mT6_T7_P12ihipStream_tbENKUlT_T0_E_clISt17integral_constantIbLb1EES15_EEDaS10_S11_EUlS10_E_NS1_11comp_targetILNS1_3genE2ELNS1_11target_archE906ELNS1_3gpuE6ELNS1_3repE0EEENS1_30default_config_static_selectorELNS0_4arch9wavefront6targetE0EEEvT1_
		.amdhsa_group_segment_fixed_size 0
		.amdhsa_private_segment_fixed_size 0
		.amdhsa_kernarg_size 120
		.amdhsa_user_sgpr_count 6
		.amdhsa_user_sgpr_private_segment_buffer 1
		.amdhsa_user_sgpr_dispatch_ptr 0
		.amdhsa_user_sgpr_queue_ptr 0
		.amdhsa_user_sgpr_kernarg_segment_ptr 1
		.amdhsa_user_sgpr_dispatch_id 0
		.amdhsa_user_sgpr_flat_scratch_init 0
		.amdhsa_user_sgpr_private_segment_size 0
		.amdhsa_wavefront_size32 1
		.amdhsa_uses_dynamic_stack 0
		.amdhsa_system_sgpr_private_segment_wavefront_offset 0
		.amdhsa_system_sgpr_workgroup_id_x 1
		.amdhsa_system_sgpr_workgroup_id_y 0
		.amdhsa_system_sgpr_workgroup_id_z 0
		.amdhsa_system_sgpr_workgroup_info 0
		.amdhsa_system_vgpr_workitem_id 0
		.amdhsa_next_free_vgpr 1
		.amdhsa_next_free_sgpr 1
		.amdhsa_reserve_vcc 0
		.amdhsa_reserve_flat_scratch 0
		.amdhsa_float_round_mode_32 0
		.amdhsa_float_round_mode_16_64 0
		.amdhsa_float_denorm_mode_32 3
		.amdhsa_float_denorm_mode_16_64 3
		.amdhsa_dx10_clamp 1
		.amdhsa_ieee_mode 1
		.amdhsa_fp16_overflow 0
		.amdhsa_workgroup_processor_mode 1
		.amdhsa_memory_ordered 1
		.amdhsa_forward_progress 1
		.amdhsa_shared_vgpr_count 0
		.amdhsa_exception_fp_ieee_invalid_op 0
		.amdhsa_exception_fp_denorm_src 0
		.amdhsa_exception_fp_ieee_div_zero 0
		.amdhsa_exception_fp_ieee_overflow 0
		.amdhsa_exception_fp_ieee_underflow 0
		.amdhsa_exception_fp_ieee_inexact 0
		.amdhsa_exception_int_div_zero 0
	.end_amdhsa_kernel
	.section	.text._ZN7rocprim17ROCPRIM_400000_NS6detail17trampoline_kernelINS0_14default_configENS1_27scan_by_key_config_selectorImiEEZZNS1_16scan_by_key_implILNS1_25lookback_scan_determinismE0ELb0ES3_N6thrust23THRUST_200600_302600_NS18transform_iteratorI9row_indexNS9_17counting_iteratorImNS9_11use_defaultESD_SD_EESD_SD_EENS9_6detail15normal_iteratorINS9_10device_ptrIiEEEESK_iNS9_4plusIvEENS9_8equal_toIvEEiEE10hipError_tPvRmT2_T3_T4_T5_mT6_T7_P12ihipStream_tbENKUlT_T0_E_clISt17integral_constantIbLb1EES15_EEDaS10_S11_EUlS10_E_NS1_11comp_targetILNS1_3genE2ELNS1_11target_archE906ELNS1_3gpuE6ELNS1_3repE0EEENS1_30default_config_static_selectorELNS0_4arch9wavefront6targetE0EEEvT1_,"axG",@progbits,_ZN7rocprim17ROCPRIM_400000_NS6detail17trampoline_kernelINS0_14default_configENS1_27scan_by_key_config_selectorImiEEZZNS1_16scan_by_key_implILNS1_25lookback_scan_determinismE0ELb0ES3_N6thrust23THRUST_200600_302600_NS18transform_iteratorI9row_indexNS9_17counting_iteratorImNS9_11use_defaultESD_SD_EESD_SD_EENS9_6detail15normal_iteratorINS9_10device_ptrIiEEEESK_iNS9_4plusIvEENS9_8equal_toIvEEiEE10hipError_tPvRmT2_T3_T4_T5_mT6_T7_P12ihipStream_tbENKUlT_T0_E_clISt17integral_constantIbLb1EES15_EEDaS10_S11_EUlS10_E_NS1_11comp_targetILNS1_3genE2ELNS1_11target_archE906ELNS1_3gpuE6ELNS1_3repE0EEENS1_30default_config_static_selectorELNS0_4arch9wavefront6targetE0EEEvT1_,comdat
.Lfunc_end19:
	.size	_ZN7rocprim17ROCPRIM_400000_NS6detail17trampoline_kernelINS0_14default_configENS1_27scan_by_key_config_selectorImiEEZZNS1_16scan_by_key_implILNS1_25lookback_scan_determinismE0ELb0ES3_N6thrust23THRUST_200600_302600_NS18transform_iteratorI9row_indexNS9_17counting_iteratorImNS9_11use_defaultESD_SD_EESD_SD_EENS9_6detail15normal_iteratorINS9_10device_ptrIiEEEESK_iNS9_4plusIvEENS9_8equal_toIvEEiEE10hipError_tPvRmT2_T3_T4_T5_mT6_T7_P12ihipStream_tbENKUlT_T0_E_clISt17integral_constantIbLb1EES15_EEDaS10_S11_EUlS10_E_NS1_11comp_targetILNS1_3genE2ELNS1_11target_archE906ELNS1_3gpuE6ELNS1_3repE0EEENS1_30default_config_static_selectorELNS0_4arch9wavefront6targetE0EEEvT1_, .Lfunc_end19-_ZN7rocprim17ROCPRIM_400000_NS6detail17trampoline_kernelINS0_14default_configENS1_27scan_by_key_config_selectorImiEEZZNS1_16scan_by_key_implILNS1_25lookback_scan_determinismE0ELb0ES3_N6thrust23THRUST_200600_302600_NS18transform_iteratorI9row_indexNS9_17counting_iteratorImNS9_11use_defaultESD_SD_EESD_SD_EENS9_6detail15normal_iteratorINS9_10device_ptrIiEEEESK_iNS9_4plusIvEENS9_8equal_toIvEEiEE10hipError_tPvRmT2_T3_T4_T5_mT6_T7_P12ihipStream_tbENKUlT_T0_E_clISt17integral_constantIbLb1EES15_EEDaS10_S11_EUlS10_E_NS1_11comp_targetILNS1_3genE2ELNS1_11target_archE906ELNS1_3gpuE6ELNS1_3repE0EEENS1_30default_config_static_selectorELNS0_4arch9wavefront6targetE0EEEvT1_
                                        ; -- End function
	.set _ZN7rocprim17ROCPRIM_400000_NS6detail17trampoline_kernelINS0_14default_configENS1_27scan_by_key_config_selectorImiEEZZNS1_16scan_by_key_implILNS1_25lookback_scan_determinismE0ELb0ES3_N6thrust23THRUST_200600_302600_NS18transform_iteratorI9row_indexNS9_17counting_iteratorImNS9_11use_defaultESD_SD_EESD_SD_EENS9_6detail15normal_iteratorINS9_10device_ptrIiEEEESK_iNS9_4plusIvEENS9_8equal_toIvEEiEE10hipError_tPvRmT2_T3_T4_T5_mT6_T7_P12ihipStream_tbENKUlT_T0_E_clISt17integral_constantIbLb1EES15_EEDaS10_S11_EUlS10_E_NS1_11comp_targetILNS1_3genE2ELNS1_11target_archE906ELNS1_3gpuE6ELNS1_3repE0EEENS1_30default_config_static_selectorELNS0_4arch9wavefront6targetE0EEEvT1_.num_vgpr, 0
	.set _ZN7rocprim17ROCPRIM_400000_NS6detail17trampoline_kernelINS0_14default_configENS1_27scan_by_key_config_selectorImiEEZZNS1_16scan_by_key_implILNS1_25lookback_scan_determinismE0ELb0ES3_N6thrust23THRUST_200600_302600_NS18transform_iteratorI9row_indexNS9_17counting_iteratorImNS9_11use_defaultESD_SD_EESD_SD_EENS9_6detail15normal_iteratorINS9_10device_ptrIiEEEESK_iNS9_4plusIvEENS9_8equal_toIvEEiEE10hipError_tPvRmT2_T3_T4_T5_mT6_T7_P12ihipStream_tbENKUlT_T0_E_clISt17integral_constantIbLb1EES15_EEDaS10_S11_EUlS10_E_NS1_11comp_targetILNS1_3genE2ELNS1_11target_archE906ELNS1_3gpuE6ELNS1_3repE0EEENS1_30default_config_static_selectorELNS0_4arch9wavefront6targetE0EEEvT1_.num_agpr, 0
	.set _ZN7rocprim17ROCPRIM_400000_NS6detail17trampoline_kernelINS0_14default_configENS1_27scan_by_key_config_selectorImiEEZZNS1_16scan_by_key_implILNS1_25lookback_scan_determinismE0ELb0ES3_N6thrust23THRUST_200600_302600_NS18transform_iteratorI9row_indexNS9_17counting_iteratorImNS9_11use_defaultESD_SD_EESD_SD_EENS9_6detail15normal_iteratorINS9_10device_ptrIiEEEESK_iNS9_4plusIvEENS9_8equal_toIvEEiEE10hipError_tPvRmT2_T3_T4_T5_mT6_T7_P12ihipStream_tbENKUlT_T0_E_clISt17integral_constantIbLb1EES15_EEDaS10_S11_EUlS10_E_NS1_11comp_targetILNS1_3genE2ELNS1_11target_archE906ELNS1_3gpuE6ELNS1_3repE0EEENS1_30default_config_static_selectorELNS0_4arch9wavefront6targetE0EEEvT1_.numbered_sgpr, 0
	.set _ZN7rocprim17ROCPRIM_400000_NS6detail17trampoline_kernelINS0_14default_configENS1_27scan_by_key_config_selectorImiEEZZNS1_16scan_by_key_implILNS1_25lookback_scan_determinismE0ELb0ES3_N6thrust23THRUST_200600_302600_NS18transform_iteratorI9row_indexNS9_17counting_iteratorImNS9_11use_defaultESD_SD_EESD_SD_EENS9_6detail15normal_iteratorINS9_10device_ptrIiEEEESK_iNS9_4plusIvEENS9_8equal_toIvEEiEE10hipError_tPvRmT2_T3_T4_T5_mT6_T7_P12ihipStream_tbENKUlT_T0_E_clISt17integral_constantIbLb1EES15_EEDaS10_S11_EUlS10_E_NS1_11comp_targetILNS1_3genE2ELNS1_11target_archE906ELNS1_3gpuE6ELNS1_3repE0EEENS1_30default_config_static_selectorELNS0_4arch9wavefront6targetE0EEEvT1_.num_named_barrier, 0
	.set _ZN7rocprim17ROCPRIM_400000_NS6detail17trampoline_kernelINS0_14default_configENS1_27scan_by_key_config_selectorImiEEZZNS1_16scan_by_key_implILNS1_25lookback_scan_determinismE0ELb0ES3_N6thrust23THRUST_200600_302600_NS18transform_iteratorI9row_indexNS9_17counting_iteratorImNS9_11use_defaultESD_SD_EESD_SD_EENS9_6detail15normal_iteratorINS9_10device_ptrIiEEEESK_iNS9_4plusIvEENS9_8equal_toIvEEiEE10hipError_tPvRmT2_T3_T4_T5_mT6_T7_P12ihipStream_tbENKUlT_T0_E_clISt17integral_constantIbLb1EES15_EEDaS10_S11_EUlS10_E_NS1_11comp_targetILNS1_3genE2ELNS1_11target_archE906ELNS1_3gpuE6ELNS1_3repE0EEENS1_30default_config_static_selectorELNS0_4arch9wavefront6targetE0EEEvT1_.private_seg_size, 0
	.set _ZN7rocprim17ROCPRIM_400000_NS6detail17trampoline_kernelINS0_14default_configENS1_27scan_by_key_config_selectorImiEEZZNS1_16scan_by_key_implILNS1_25lookback_scan_determinismE0ELb0ES3_N6thrust23THRUST_200600_302600_NS18transform_iteratorI9row_indexNS9_17counting_iteratorImNS9_11use_defaultESD_SD_EESD_SD_EENS9_6detail15normal_iteratorINS9_10device_ptrIiEEEESK_iNS9_4plusIvEENS9_8equal_toIvEEiEE10hipError_tPvRmT2_T3_T4_T5_mT6_T7_P12ihipStream_tbENKUlT_T0_E_clISt17integral_constantIbLb1EES15_EEDaS10_S11_EUlS10_E_NS1_11comp_targetILNS1_3genE2ELNS1_11target_archE906ELNS1_3gpuE6ELNS1_3repE0EEENS1_30default_config_static_selectorELNS0_4arch9wavefront6targetE0EEEvT1_.uses_vcc, 0
	.set _ZN7rocprim17ROCPRIM_400000_NS6detail17trampoline_kernelINS0_14default_configENS1_27scan_by_key_config_selectorImiEEZZNS1_16scan_by_key_implILNS1_25lookback_scan_determinismE0ELb0ES3_N6thrust23THRUST_200600_302600_NS18transform_iteratorI9row_indexNS9_17counting_iteratorImNS9_11use_defaultESD_SD_EESD_SD_EENS9_6detail15normal_iteratorINS9_10device_ptrIiEEEESK_iNS9_4plusIvEENS9_8equal_toIvEEiEE10hipError_tPvRmT2_T3_T4_T5_mT6_T7_P12ihipStream_tbENKUlT_T0_E_clISt17integral_constantIbLb1EES15_EEDaS10_S11_EUlS10_E_NS1_11comp_targetILNS1_3genE2ELNS1_11target_archE906ELNS1_3gpuE6ELNS1_3repE0EEENS1_30default_config_static_selectorELNS0_4arch9wavefront6targetE0EEEvT1_.uses_flat_scratch, 0
	.set _ZN7rocprim17ROCPRIM_400000_NS6detail17trampoline_kernelINS0_14default_configENS1_27scan_by_key_config_selectorImiEEZZNS1_16scan_by_key_implILNS1_25lookback_scan_determinismE0ELb0ES3_N6thrust23THRUST_200600_302600_NS18transform_iteratorI9row_indexNS9_17counting_iteratorImNS9_11use_defaultESD_SD_EESD_SD_EENS9_6detail15normal_iteratorINS9_10device_ptrIiEEEESK_iNS9_4plusIvEENS9_8equal_toIvEEiEE10hipError_tPvRmT2_T3_T4_T5_mT6_T7_P12ihipStream_tbENKUlT_T0_E_clISt17integral_constantIbLb1EES15_EEDaS10_S11_EUlS10_E_NS1_11comp_targetILNS1_3genE2ELNS1_11target_archE906ELNS1_3gpuE6ELNS1_3repE0EEENS1_30default_config_static_selectorELNS0_4arch9wavefront6targetE0EEEvT1_.has_dyn_sized_stack, 0
	.set _ZN7rocprim17ROCPRIM_400000_NS6detail17trampoline_kernelINS0_14default_configENS1_27scan_by_key_config_selectorImiEEZZNS1_16scan_by_key_implILNS1_25lookback_scan_determinismE0ELb0ES3_N6thrust23THRUST_200600_302600_NS18transform_iteratorI9row_indexNS9_17counting_iteratorImNS9_11use_defaultESD_SD_EESD_SD_EENS9_6detail15normal_iteratorINS9_10device_ptrIiEEEESK_iNS9_4plusIvEENS9_8equal_toIvEEiEE10hipError_tPvRmT2_T3_T4_T5_mT6_T7_P12ihipStream_tbENKUlT_T0_E_clISt17integral_constantIbLb1EES15_EEDaS10_S11_EUlS10_E_NS1_11comp_targetILNS1_3genE2ELNS1_11target_archE906ELNS1_3gpuE6ELNS1_3repE0EEENS1_30default_config_static_selectorELNS0_4arch9wavefront6targetE0EEEvT1_.has_recursion, 0
	.set _ZN7rocprim17ROCPRIM_400000_NS6detail17trampoline_kernelINS0_14default_configENS1_27scan_by_key_config_selectorImiEEZZNS1_16scan_by_key_implILNS1_25lookback_scan_determinismE0ELb0ES3_N6thrust23THRUST_200600_302600_NS18transform_iteratorI9row_indexNS9_17counting_iteratorImNS9_11use_defaultESD_SD_EESD_SD_EENS9_6detail15normal_iteratorINS9_10device_ptrIiEEEESK_iNS9_4plusIvEENS9_8equal_toIvEEiEE10hipError_tPvRmT2_T3_T4_T5_mT6_T7_P12ihipStream_tbENKUlT_T0_E_clISt17integral_constantIbLb1EES15_EEDaS10_S11_EUlS10_E_NS1_11comp_targetILNS1_3genE2ELNS1_11target_archE906ELNS1_3gpuE6ELNS1_3repE0EEENS1_30default_config_static_selectorELNS0_4arch9wavefront6targetE0EEEvT1_.has_indirect_call, 0
	.section	.AMDGPU.csdata,"",@progbits
; Kernel info:
; codeLenInByte = 0
; TotalNumSgprs: 0
; NumVgprs: 0
; ScratchSize: 0
; MemoryBound: 0
; FloatMode: 240
; IeeeMode: 1
; LDSByteSize: 0 bytes/workgroup (compile time only)
; SGPRBlocks: 0
; VGPRBlocks: 0
; NumSGPRsForWavesPerEU: 1
; NumVGPRsForWavesPerEU: 1
; Occupancy: 16
; WaveLimiterHint : 0
; COMPUTE_PGM_RSRC2:SCRATCH_EN: 0
; COMPUTE_PGM_RSRC2:USER_SGPR: 6
; COMPUTE_PGM_RSRC2:TRAP_HANDLER: 0
; COMPUTE_PGM_RSRC2:TGID_X_EN: 1
; COMPUTE_PGM_RSRC2:TGID_Y_EN: 0
; COMPUTE_PGM_RSRC2:TGID_Z_EN: 0
; COMPUTE_PGM_RSRC2:TIDIG_COMP_CNT: 0
	.section	.text._ZN7rocprim17ROCPRIM_400000_NS6detail17trampoline_kernelINS0_14default_configENS1_27scan_by_key_config_selectorImiEEZZNS1_16scan_by_key_implILNS1_25lookback_scan_determinismE0ELb0ES3_N6thrust23THRUST_200600_302600_NS18transform_iteratorI9row_indexNS9_17counting_iteratorImNS9_11use_defaultESD_SD_EESD_SD_EENS9_6detail15normal_iteratorINS9_10device_ptrIiEEEESK_iNS9_4plusIvEENS9_8equal_toIvEEiEE10hipError_tPvRmT2_T3_T4_T5_mT6_T7_P12ihipStream_tbENKUlT_T0_E_clISt17integral_constantIbLb1EES15_EEDaS10_S11_EUlS10_E_NS1_11comp_targetILNS1_3genE10ELNS1_11target_archE1200ELNS1_3gpuE4ELNS1_3repE0EEENS1_30default_config_static_selectorELNS0_4arch9wavefront6targetE0EEEvT1_,"axG",@progbits,_ZN7rocprim17ROCPRIM_400000_NS6detail17trampoline_kernelINS0_14default_configENS1_27scan_by_key_config_selectorImiEEZZNS1_16scan_by_key_implILNS1_25lookback_scan_determinismE0ELb0ES3_N6thrust23THRUST_200600_302600_NS18transform_iteratorI9row_indexNS9_17counting_iteratorImNS9_11use_defaultESD_SD_EESD_SD_EENS9_6detail15normal_iteratorINS9_10device_ptrIiEEEESK_iNS9_4plusIvEENS9_8equal_toIvEEiEE10hipError_tPvRmT2_T3_T4_T5_mT6_T7_P12ihipStream_tbENKUlT_T0_E_clISt17integral_constantIbLb1EES15_EEDaS10_S11_EUlS10_E_NS1_11comp_targetILNS1_3genE10ELNS1_11target_archE1200ELNS1_3gpuE4ELNS1_3repE0EEENS1_30default_config_static_selectorELNS0_4arch9wavefront6targetE0EEEvT1_,comdat
	.protected	_ZN7rocprim17ROCPRIM_400000_NS6detail17trampoline_kernelINS0_14default_configENS1_27scan_by_key_config_selectorImiEEZZNS1_16scan_by_key_implILNS1_25lookback_scan_determinismE0ELb0ES3_N6thrust23THRUST_200600_302600_NS18transform_iteratorI9row_indexNS9_17counting_iteratorImNS9_11use_defaultESD_SD_EESD_SD_EENS9_6detail15normal_iteratorINS9_10device_ptrIiEEEESK_iNS9_4plusIvEENS9_8equal_toIvEEiEE10hipError_tPvRmT2_T3_T4_T5_mT6_T7_P12ihipStream_tbENKUlT_T0_E_clISt17integral_constantIbLb1EES15_EEDaS10_S11_EUlS10_E_NS1_11comp_targetILNS1_3genE10ELNS1_11target_archE1200ELNS1_3gpuE4ELNS1_3repE0EEENS1_30default_config_static_selectorELNS0_4arch9wavefront6targetE0EEEvT1_ ; -- Begin function _ZN7rocprim17ROCPRIM_400000_NS6detail17trampoline_kernelINS0_14default_configENS1_27scan_by_key_config_selectorImiEEZZNS1_16scan_by_key_implILNS1_25lookback_scan_determinismE0ELb0ES3_N6thrust23THRUST_200600_302600_NS18transform_iteratorI9row_indexNS9_17counting_iteratorImNS9_11use_defaultESD_SD_EESD_SD_EENS9_6detail15normal_iteratorINS9_10device_ptrIiEEEESK_iNS9_4plusIvEENS9_8equal_toIvEEiEE10hipError_tPvRmT2_T3_T4_T5_mT6_T7_P12ihipStream_tbENKUlT_T0_E_clISt17integral_constantIbLb1EES15_EEDaS10_S11_EUlS10_E_NS1_11comp_targetILNS1_3genE10ELNS1_11target_archE1200ELNS1_3gpuE4ELNS1_3repE0EEENS1_30default_config_static_selectorELNS0_4arch9wavefront6targetE0EEEvT1_
	.globl	_ZN7rocprim17ROCPRIM_400000_NS6detail17trampoline_kernelINS0_14default_configENS1_27scan_by_key_config_selectorImiEEZZNS1_16scan_by_key_implILNS1_25lookback_scan_determinismE0ELb0ES3_N6thrust23THRUST_200600_302600_NS18transform_iteratorI9row_indexNS9_17counting_iteratorImNS9_11use_defaultESD_SD_EESD_SD_EENS9_6detail15normal_iteratorINS9_10device_ptrIiEEEESK_iNS9_4plusIvEENS9_8equal_toIvEEiEE10hipError_tPvRmT2_T3_T4_T5_mT6_T7_P12ihipStream_tbENKUlT_T0_E_clISt17integral_constantIbLb1EES15_EEDaS10_S11_EUlS10_E_NS1_11comp_targetILNS1_3genE10ELNS1_11target_archE1200ELNS1_3gpuE4ELNS1_3repE0EEENS1_30default_config_static_selectorELNS0_4arch9wavefront6targetE0EEEvT1_
	.p2align	8
	.type	_ZN7rocprim17ROCPRIM_400000_NS6detail17trampoline_kernelINS0_14default_configENS1_27scan_by_key_config_selectorImiEEZZNS1_16scan_by_key_implILNS1_25lookback_scan_determinismE0ELb0ES3_N6thrust23THRUST_200600_302600_NS18transform_iteratorI9row_indexNS9_17counting_iteratorImNS9_11use_defaultESD_SD_EESD_SD_EENS9_6detail15normal_iteratorINS9_10device_ptrIiEEEESK_iNS9_4plusIvEENS9_8equal_toIvEEiEE10hipError_tPvRmT2_T3_T4_T5_mT6_T7_P12ihipStream_tbENKUlT_T0_E_clISt17integral_constantIbLb1EES15_EEDaS10_S11_EUlS10_E_NS1_11comp_targetILNS1_3genE10ELNS1_11target_archE1200ELNS1_3gpuE4ELNS1_3repE0EEENS1_30default_config_static_selectorELNS0_4arch9wavefront6targetE0EEEvT1_,@function
_ZN7rocprim17ROCPRIM_400000_NS6detail17trampoline_kernelINS0_14default_configENS1_27scan_by_key_config_selectorImiEEZZNS1_16scan_by_key_implILNS1_25lookback_scan_determinismE0ELb0ES3_N6thrust23THRUST_200600_302600_NS18transform_iteratorI9row_indexNS9_17counting_iteratorImNS9_11use_defaultESD_SD_EESD_SD_EENS9_6detail15normal_iteratorINS9_10device_ptrIiEEEESK_iNS9_4plusIvEENS9_8equal_toIvEEiEE10hipError_tPvRmT2_T3_T4_T5_mT6_T7_P12ihipStream_tbENKUlT_T0_E_clISt17integral_constantIbLb1EES15_EEDaS10_S11_EUlS10_E_NS1_11comp_targetILNS1_3genE10ELNS1_11target_archE1200ELNS1_3gpuE4ELNS1_3repE0EEENS1_30default_config_static_selectorELNS0_4arch9wavefront6targetE0EEEvT1_: ; @_ZN7rocprim17ROCPRIM_400000_NS6detail17trampoline_kernelINS0_14default_configENS1_27scan_by_key_config_selectorImiEEZZNS1_16scan_by_key_implILNS1_25lookback_scan_determinismE0ELb0ES3_N6thrust23THRUST_200600_302600_NS18transform_iteratorI9row_indexNS9_17counting_iteratorImNS9_11use_defaultESD_SD_EESD_SD_EENS9_6detail15normal_iteratorINS9_10device_ptrIiEEEESK_iNS9_4plusIvEENS9_8equal_toIvEEiEE10hipError_tPvRmT2_T3_T4_T5_mT6_T7_P12ihipStream_tbENKUlT_T0_E_clISt17integral_constantIbLb1EES15_EEDaS10_S11_EUlS10_E_NS1_11comp_targetILNS1_3genE10ELNS1_11target_archE1200ELNS1_3gpuE4ELNS1_3repE0EEENS1_30default_config_static_selectorELNS0_4arch9wavefront6targetE0EEEvT1_
; %bb.0:
	.section	.rodata,"a",@progbits
	.p2align	6, 0x0
	.amdhsa_kernel _ZN7rocprim17ROCPRIM_400000_NS6detail17trampoline_kernelINS0_14default_configENS1_27scan_by_key_config_selectorImiEEZZNS1_16scan_by_key_implILNS1_25lookback_scan_determinismE0ELb0ES3_N6thrust23THRUST_200600_302600_NS18transform_iteratorI9row_indexNS9_17counting_iteratorImNS9_11use_defaultESD_SD_EESD_SD_EENS9_6detail15normal_iteratorINS9_10device_ptrIiEEEESK_iNS9_4plusIvEENS9_8equal_toIvEEiEE10hipError_tPvRmT2_T3_T4_T5_mT6_T7_P12ihipStream_tbENKUlT_T0_E_clISt17integral_constantIbLb1EES15_EEDaS10_S11_EUlS10_E_NS1_11comp_targetILNS1_3genE10ELNS1_11target_archE1200ELNS1_3gpuE4ELNS1_3repE0EEENS1_30default_config_static_selectorELNS0_4arch9wavefront6targetE0EEEvT1_
		.amdhsa_group_segment_fixed_size 0
		.amdhsa_private_segment_fixed_size 0
		.amdhsa_kernarg_size 120
		.amdhsa_user_sgpr_count 6
		.amdhsa_user_sgpr_private_segment_buffer 1
		.amdhsa_user_sgpr_dispatch_ptr 0
		.amdhsa_user_sgpr_queue_ptr 0
		.amdhsa_user_sgpr_kernarg_segment_ptr 1
		.amdhsa_user_sgpr_dispatch_id 0
		.amdhsa_user_sgpr_flat_scratch_init 0
		.amdhsa_user_sgpr_private_segment_size 0
		.amdhsa_wavefront_size32 1
		.amdhsa_uses_dynamic_stack 0
		.amdhsa_system_sgpr_private_segment_wavefront_offset 0
		.amdhsa_system_sgpr_workgroup_id_x 1
		.amdhsa_system_sgpr_workgroup_id_y 0
		.amdhsa_system_sgpr_workgroup_id_z 0
		.amdhsa_system_sgpr_workgroup_info 0
		.amdhsa_system_vgpr_workitem_id 0
		.amdhsa_next_free_vgpr 1
		.amdhsa_next_free_sgpr 1
		.amdhsa_reserve_vcc 0
		.amdhsa_reserve_flat_scratch 0
		.amdhsa_float_round_mode_32 0
		.amdhsa_float_round_mode_16_64 0
		.amdhsa_float_denorm_mode_32 3
		.amdhsa_float_denorm_mode_16_64 3
		.amdhsa_dx10_clamp 1
		.amdhsa_ieee_mode 1
		.amdhsa_fp16_overflow 0
		.amdhsa_workgroup_processor_mode 1
		.amdhsa_memory_ordered 1
		.amdhsa_forward_progress 1
		.amdhsa_shared_vgpr_count 0
		.amdhsa_exception_fp_ieee_invalid_op 0
		.amdhsa_exception_fp_denorm_src 0
		.amdhsa_exception_fp_ieee_div_zero 0
		.amdhsa_exception_fp_ieee_overflow 0
		.amdhsa_exception_fp_ieee_underflow 0
		.amdhsa_exception_fp_ieee_inexact 0
		.amdhsa_exception_int_div_zero 0
	.end_amdhsa_kernel
	.section	.text._ZN7rocprim17ROCPRIM_400000_NS6detail17trampoline_kernelINS0_14default_configENS1_27scan_by_key_config_selectorImiEEZZNS1_16scan_by_key_implILNS1_25lookback_scan_determinismE0ELb0ES3_N6thrust23THRUST_200600_302600_NS18transform_iteratorI9row_indexNS9_17counting_iteratorImNS9_11use_defaultESD_SD_EESD_SD_EENS9_6detail15normal_iteratorINS9_10device_ptrIiEEEESK_iNS9_4plusIvEENS9_8equal_toIvEEiEE10hipError_tPvRmT2_T3_T4_T5_mT6_T7_P12ihipStream_tbENKUlT_T0_E_clISt17integral_constantIbLb1EES15_EEDaS10_S11_EUlS10_E_NS1_11comp_targetILNS1_3genE10ELNS1_11target_archE1200ELNS1_3gpuE4ELNS1_3repE0EEENS1_30default_config_static_selectorELNS0_4arch9wavefront6targetE0EEEvT1_,"axG",@progbits,_ZN7rocprim17ROCPRIM_400000_NS6detail17trampoline_kernelINS0_14default_configENS1_27scan_by_key_config_selectorImiEEZZNS1_16scan_by_key_implILNS1_25lookback_scan_determinismE0ELb0ES3_N6thrust23THRUST_200600_302600_NS18transform_iteratorI9row_indexNS9_17counting_iteratorImNS9_11use_defaultESD_SD_EESD_SD_EENS9_6detail15normal_iteratorINS9_10device_ptrIiEEEESK_iNS9_4plusIvEENS9_8equal_toIvEEiEE10hipError_tPvRmT2_T3_T4_T5_mT6_T7_P12ihipStream_tbENKUlT_T0_E_clISt17integral_constantIbLb1EES15_EEDaS10_S11_EUlS10_E_NS1_11comp_targetILNS1_3genE10ELNS1_11target_archE1200ELNS1_3gpuE4ELNS1_3repE0EEENS1_30default_config_static_selectorELNS0_4arch9wavefront6targetE0EEEvT1_,comdat
.Lfunc_end20:
	.size	_ZN7rocprim17ROCPRIM_400000_NS6detail17trampoline_kernelINS0_14default_configENS1_27scan_by_key_config_selectorImiEEZZNS1_16scan_by_key_implILNS1_25lookback_scan_determinismE0ELb0ES3_N6thrust23THRUST_200600_302600_NS18transform_iteratorI9row_indexNS9_17counting_iteratorImNS9_11use_defaultESD_SD_EESD_SD_EENS9_6detail15normal_iteratorINS9_10device_ptrIiEEEESK_iNS9_4plusIvEENS9_8equal_toIvEEiEE10hipError_tPvRmT2_T3_T4_T5_mT6_T7_P12ihipStream_tbENKUlT_T0_E_clISt17integral_constantIbLb1EES15_EEDaS10_S11_EUlS10_E_NS1_11comp_targetILNS1_3genE10ELNS1_11target_archE1200ELNS1_3gpuE4ELNS1_3repE0EEENS1_30default_config_static_selectorELNS0_4arch9wavefront6targetE0EEEvT1_, .Lfunc_end20-_ZN7rocprim17ROCPRIM_400000_NS6detail17trampoline_kernelINS0_14default_configENS1_27scan_by_key_config_selectorImiEEZZNS1_16scan_by_key_implILNS1_25lookback_scan_determinismE0ELb0ES3_N6thrust23THRUST_200600_302600_NS18transform_iteratorI9row_indexNS9_17counting_iteratorImNS9_11use_defaultESD_SD_EESD_SD_EENS9_6detail15normal_iteratorINS9_10device_ptrIiEEEESK_iNS9_4plusIvEENS9_8equal_toIvEEiEE10hipError_tPvRmT2_T3_T4_T5_mT6_T7_P12ihipStream_tbENKUlT_T0_E_clISt17integral_constantIbLb1EES15_EEDaS10_S11_EUlS10_E_NS1_11comp_targetILNS1_3genE10ELNS1_11target_archE1200ELNS1_3gpuE4ELNS1_3repE0EEENS1_30default_config_static_selectorELNS0_4arch9wavefront6targetE0EEEvT1_
                                        ; -- End function
	.set _ZN7rocprim17ROCPRIM_400000_NS6detail17trampoline_kernelINS0_14default_configENS1_27scan_by_key_config_selectorImiEEZZNS1_16scan_by_key_implILNS1_25lookback_scan_determinismE0ELb0ES3_N6thrust23THRUST_200600_302600_NS18transform_iteratorI9row_indexNS9_17counting_iteratorImNS9_11use_defaultESD_SD_EESD_SD_EENS9_6detail15normal_iteratorINS9_10device_ptrIiEEEESK_iNS9_4plusIvEENS9_8equal_toIvEEiEE10hipError_tPvRmT2_T3_T4_T5_mT6_T7_P12ihipStream_tbENKUlT_T0_E_clISt17integral_constantIbLb1EES15_EEDaS10_S11_EUlS10_E_NS1_11comp_targetILNS1_3genE10ELNS1_11target_archE1200ELNS1_3gpuE4ELNS1_3repE0EEENS1_30default_config_static_selectorELNS0_4arch9wavefront6targetE0EEEvT1_.num_vgpr, 0
	.set _ZN7rocprim17ROCPRIM_400000_NS6detail17trampoline_kernelINS0_14default_configENS1_27scan_by_key_config_selectorImiEEZZNS1_16scan_by_key_implILNS1_25lookback_scan_determinismE0ELb0ES3_N6thrust23THRUST_200600_302600_NS18transform_iteratorI9row_indexNS9_17counting_iteratorImNS9_11use_defaultESD_SD_EESD_SD_EENS9_6detail15normal_iteratorINS9_10device_ptrIiEEEESK_iNS9_4plusIvEENS9_8equal_toIvEEiEE10hipError_tPvRmT2_T3_T4_T5_mT6_T7_P12ihipStream_tbENKUlT_T0_E_clISt17integral_constantIbLb1EES15_EEDaS10_S11_EUlS10_E_NS1_11comp_targetILNS1_3genE10ELNS1_11target_archE1200ELNS1_3gpuE4ELNS1_3repE0EEENS1_30default_config_static_selectorELNS0_4arch9wavefront6targetE0EEEvT1_.num_agpr, 0
	.set _ZN7rocprim17ROCPRIM_400000_NS6detail17trampoline_kernelINS0_14default_configENS1_27scan_by_key_config_selectorImiEEZZNS1_16scan_by_key_implILNS1_25lookback_scan_determinismE0ELb0ES3_N6thrust23THRUST_200600_302600_NS18transform_iteratorI9row_indexNS9_17counting_iteratorImNS9_11use_defaultESD_SD_EESD_SD_EENS9_6detail15normal_iteratorINS9_10device_ptrIiEEEESK_iNS9_4plusIvEENS9_8equal_toIvEEiEE10hipError_tPvRmT2_T3_T4_T5_mT6_T7_P12ihipStream_tbENKUlT_T0_E_clISt17integral_constantIbLb1EES15_EEDaS10_S11_EUlS10_E_NS1_11comp_targetILNS1_3genE10ELNS1_11target_archE1200ELNS1_3gpuE4ELNS1_3repE0EEENS1_30default_config_static_selectorELNS0_4arch9wavefront6targetE0EEEvT1_.numbered_sgpr, 0
	.set _ZN7rocprim17ROCPRIM_400000_NS6detail17trampoline_kernelINS0_14default_configENS1_27scan_by_key_config_selectorImiEEZZNS1_16scan_by_key_implILNS1_25lookback_scan_determinismE0ELb0ES3_N6thrust23THRUST_200600_302600_NS18transform_iteratorI9row_indexNS9_17counting_iteratorImNS9_11use_defaultESD_SD_EESD_SD_EENS9_6detail15normal_iteratorINS9_10device_ptrIiEEEESK_iNS9_4plusIvEENS9_8equal_toIvEEiEE10hipError_tPvRmT2_T3_T4_T5_mT6_T7_P12ihipStream_tbENKUlT_T0_E_clISt17integral_constantIbLb1EES15_EEDaS10_S11_EUlS10_E_NS1_11comp_targetILNS1_3genE10ELNS1_11target_archE1200ELNS1_3gpuE4ELNS1_3repE0EEENS1_30default_config_static_selectorELNS0_4arch9wavefront6targetE0EEEvT1_.num_named_barrier, 0
	.set _ZN7rocprim17ROCPRIM_400000_NS6detail17trampoline_kernelINS0_14default_configENS1_27scan_by_key_config_selectorImiEEZZNS1_16scan_by_key_implILNS1_25lookback_scan_determinismE0ELb0ES3_N6thrust23THRUST_200600_302600_NS18transform_iteratorI9row_indexNS9_17counting_iteratorImNS9_11use_defaultESD_SD_EESD_SD_EENS9_6detail15normal_iteratorINS9_10device_ptrIiEEEESK_iNS9_4plusIvEENS9_8equal_toIvEEiEE10hipError_tPvRmT2_T3_T4_T5_mT6_T7_P12ihipStream_tbENKUlT_T0_E_clISt17integral_constantIbLb1EES15_EEDaS10_S11_EUlS10_E_NS1_11comp_targetILNS1_3genE10ELNS1_11target_archE1200ELNS1_3gpuE4ELNS1_3repE0EEENS1_30default_config_static_selectorELNS0_4arch9wavefront6targetE0EEEvT1_.private_seg_size, 0
	.set _ZN7rocprim17ROCPRIM_400000_NS6detail17trampoline_kernelINS0_14default_configENS1_27scan_by_key_config_selectorImiEEZZNS1_16scan_by_key_implILNS1_25lookback_scan_determinismE0ELb0ES3_N6thrust23THRUST_200600_302600_NS18transform_iteratorI9row_indexNS9_17counting_iteratorImNS9_11use_defaultESD_SD_EESD_SD_EENS9_6detail15normal_iteratorINS9_10device_ptrIiEEEESK_iNS9_4plusIvEENS9_8equal_toIvEEiEE10hipError_tPvRmT2_T3_T4_T5_mT6_T7_P12ihipStream_tbENKUlT_T0_E_clISt17integral_constantIbLb1EES15_EEDaS10_S11_EUlS10_E_NS1_11comp_targetILNS1_3genE10ELNS1_11target_archE1200ELNS1_3gpuE4ELNS1_3repE0EEENS1_30default_config_static_selectorELNS0_4arch9wavefront6targetE0EEEvT1_.uses_vcc, 0
	.set _ZN7rocprim17ROCPRIM_400000_NS6detail17trampoline_kernelINS0_14default_configENS1_27scan_by_key_config_selectorImiEEZZNS1_16scan_by_key_implILNS1_25lookback_scan_determinismE0ELb0ES3_N6thrust23THRUST_200600_302600_NS18transform_iteratorI9row_indexNS9_17counting_iteratorImNS9_11use_defaultESD_SD_EESD_SD_EENS9_6detail15normal_iteratorINS9_10device_ptrIiEEEESK_iNS9_4plusIvEENS9_8equal_toIvEEiEE10hipError_tPvRmT2_T3_T4_T5_mT6_T7_P12ihipStream_tbENKUlT_T0_E_clISt17integral_constantIbLb1EES15_EEDaS10_S11_EUlS10_E_NS1_11comp_targetILNS1_3genE10ELNS1_11target_archE1200ELNS1_3gpuE4ELNS1_3repE0EEENS1_30default_config_static_selectorELNS0_4arch9wavefront6targetE0EEEvT1_.uses_flat_scratch, 0
	.set _ZN7rocprim17ROCPRIM_400000_NS6detail17trampoline_kernelINS0_14default_configENS1_27scan_by_key_config_selectorImiEEZZNS1_16scan_by_key_implILNS1_25lookback_scan_determinismE0ELb0ES3_N6thrust23THRUST_200600_302600_NS18transform_iteratorI9row_indexNS9_17counting_iteratorImNS9_11use_defaultESD_SD_EESD_SD_EENS9_6detail15normal_iteratorINS9_10device_ptrIiEEEESK_iNS9_4plusIvEENS9_8equal_toIvEEiEE10hipError_tPvRmT2_T3_T4_T5_mT6_T7_P12ihipStream_tbENKUlT_T0_E_clISt17integral_constantIbLb1EES15_EEDaS10_S11_EUlS10_E_NS1_11comp_targetILNS1_3genE10ELNS1_11target_archE1200ELNS1_3gpuE4ELNS1_3repE0EEENS1_30default_config_static_selectorELNS0_4arch9wavefront6targetE0EEEvT1_.has_dyn_sized_stack, 0
	.set _ZN7rocprim17ROCPRIM_400000_NS6detail17trampoline_kernelINS0_14default_configENS1_27scan_by_key_config_selectorImiEEZZNS1_16scan_by_key_implILNS1_25lookback_scan_determinismE0ELb0ES3_N6thrust23THRUST_200600_302600_NS18transform_iteratorI9row_indexNS9_17counting_iteratorImNS9_11use_defaultESD_SD_EESD_SD_EENS9_6detail15normal_iteratorINS9_10device_ptrIiEEEESK_iNS9_4plusIvEENS9_8equal_toIvEEiEE10hipError_tPvRmT2_T3_T4_T5_mT6_T7_P12ihipStream_tbENKUlT_T0_E_clISt17integral_constantIbLb1EES15_EEDaS10_S11_EUlS10_E_NS1_11comp_targetILNS1_3genE10ELNS1_11target_archE1200ELNS1_3gpuE4ELNS1_3repE0EEENS1_30default_config_static_selectorELNS0_4arch9wavefront6targetE0EEEvT1_.has_recursion, 0
	.set _ZN7rocprim17ROCPRIM_400000_NS6detail17trampoline_kernelINS0_14default_configENS1_27scan_by_key_config_selectorImiEEZZNS1_16scan_by_key_implILNS1_25lookback_scan_determinismE0ELb0ES3_N6thrust23THRUST_200600_302600_NS18transform_iteratorI9row_indexNS9_17counting_iteratorImNS9_11use_defaultESD_SD_EESD_SD_EENS9_6detail15normal_iteratorINS9_10device_ptrIiEEEESK_iNS9_4plusIvEENS9_8equal_toIvEEiEE10hipError_tPvRmT2_T3_T4_T5_mT6_T7_P12ihipStream_tbENKUlT_T0_E_clISt17integral_constantIbLb1EES15_EEDaS10_S11_EUlS10_E_NS1_11comp_targetILNS1_3genE10ELNS1_11target_archE1200ELNS1_3gpuE4ELNS1_3repE0EEENS1_30default_config_static_selectorELNS0_4arch9wavefront6targetE0EEEvT1_.has_indirect_call, 0
	.section	.AMDGPU.csdata,"",@progbits
; Kernel info:
; codeLenInByte = 0
; TotalNumSgprs: 0
; NumVgprs: 0
; ScratchSize: 0
; MemoryBound: 0
; FloatMode: 240
; IeeeMode: 1
; LDSByteSize: 0 bytes/workgroup (compile time only)
; SGPRBlocks: 0
; VGPRBlocks: 0
; NumSGPRsForWavesPerEU: 1
; NumVGPRsForWavesPerEU: 1
; Occupancy: 16
; WaveLimiterHint : 0
; COMPUTE_PGM_RSRC2:SCRATCH_EN: 0
; COMPUTE_PGM_RSRC2:USER_SGPR: 6
; COMPUTE_PGM_RSRC2:TRAP_HANDLER: 0
; COMPUTE_PGM_RSRC2:TGID_X_EN: 1
; COMPUTE_PGM_RSRC2:TGID_Y_EN: 0
; COMPUTE_PGM_RSRC2:TGID_Z_EN: 0
; COMPUTE_PGM_RSRC2:TIDIG_COMP_CNT: 0
	.section	.text._ZN7rocprim17ROCPRIM_400000_NS6detail17trampoline_kernelINS0_14default_configENS1_27scan_by_key_config_selectorImiEEZZNS1_16scan_by_key_implILNS1_25lookback_scan_determinismE0ELb0ES3_N6thrust23THRUST_200600_302600_NS18transform_iteratorI9row_indexNS9_17counting_iteratorImNS9_11use_defaultESD_SD_EESD_SD_EENS9_6detail15normal_iteratorINS9_10device_ptrIiEEEESK_iNS9_4plusIvEENS9_8equal_toIvEEiEE10hipError_tPvRmT2_T3_T4_T5_mT6_T7_P12ihipStream_tbENKUlT_T0_E_clISt17integral_constantIbLb1EES15_EEDaS10_S11_EUlS10_E_NS1_11comp_targetILNS1_3genE9ELNS1_11target_archE1100ELNS1_3gpuE3ELNS1_3repE0EEENS1_30default_config_static_selectorELNS0_4arch9wavefront6targetE0EEEvT1_,"axG",@progbits,_ZN7rocprim17ROCPRIM_400000_NS6detail17trampoline_kernelINS0_14default_configENS1_27scan_by_key_config_selectorImiEEZZNS1_16scan_by_key_implILNS1_25lookback_scan_determinismE0ELb0ES3_N6thrust23THRUST_200600_302600_NS18transform_iteratorI9row_indexNS9_17counting_iteratorImNS9_11use_defaultESD_SD_EESD_SD_EENS9_6detail15normal_iteratorINS9_10device_ptrIiEEEESK_iNS9_4plusIvEENS9_8equal_toIvEEiEE10hipError_tPvRmT2_T3_T4_T5_mT6_T7_P12ihipStream_tbENKUlT_T0_E_clISt17integral_constantIbLb1EES15_EEDaS10_S11_EUlS10_E_NS1_11comp_targetILNS1_3genE9ELNS1_11target_archE1100ELNS1_3gpuE3ELNS1_3repE0EEENS1_30default_config_static_selectorELNS0_4arch9wavefront6targetE0EEEvT1_,comdat
	.protected	_ZN7rocprim17ROCPRIM_400000_NS6detail17trampoline_kernelINS0_14default_configENS1_27scan_by_key_config_selectorImiEEZZNS1_16scan_by_key_implILNS1_25lookback_scan_determinismE0ELb0ES3_N6thrust23THRUST_200600_302600_NS18transform_iteratorI9row_indexNS9_17counting_iteratorImNS9_11use_defaultESD_SD_EESD_SD_EENS9_6detail15normal_iteratorINS9_10device_ptrIiEEEESK_iNS9_4plusIvEENS9_8equal_toIvEEiEE10hipError_tPvRmT2_T3_T4_T5_mT6_T7_P12ihipStream_tbENKUlT_T0_E_clISt17integral_constantIbLb1EES15_EEDaS10_S11_EUlS10_E_NS1_11comp_targetILNS1_3genE9ELNS1_11target_archE1100ELNS1_3gpuE3ELNS1_3repE0EEENS1_30default_config_static_selectorELNS0_4arch9wavefront6targetE0EEEvT1_ ; -- Begin function _ZN7rocprim17ROCPRIM_400000_NS6detail17trampoline_kernelINS0_14default_configENS1_27scan_by_key_config_selectorImiEEZZNS1_16scan_by_key_implILNS1_25lookback_scan_determinismE0ELb0ES3_N6thrust23THRUST_200600_302600_NS18transform_iteratorI9row_indexNS9_17counting_iteratorImNS9_11use_defaultESD_SD_EESD_SD_EENS9_6detail15normal_iteratorINS9_10device_ptrIiEEEESK_iNS9_4plusIvEENS9_8equal_toIvEEiEE10hipError_tPvRmT2_T3_T4_T5_mT6_T7_P12ihipStream_tbENKUlT_T0_E_clISt17integral_constantIbLb1EES15_EEDaS10_S11_EUlS10_E_NS1_11comp_targetILNS1_3genE9ELNS1_11target_archE1100ELNS1_3gpuE3ELNS1_3repE0EEENS1_30default_config_static_selectorELNS0_4arch9wavefront6targetE0EEEvT1_
	.globl	_ZN7rocprim17ROCPRIM_400000_NS6detail17trampoline_kernelINS0_14default_configENS1_27scan_by_key_config_selectorImiEEZZNS1_16scan_by_key_implILNS1_25lookback_scan_determinismE0ELb0ES3_N6thrust23THRUST_200600_302600_NS18transform_iteratorI9row_indexNS9_17counting_iteratorImNS9_11use_defaultESD_SD_EESD_SD_EENS9_6detail15normal_iteratorINS9_10device_ptrIiEEEESK_iNS9_4plusIvEENS9_8equal_toIvEEiEE10hipError_tPvRmT2_T3_T4_T5_mT6_T7_P12ihipStream_tbENKUlT_T0_E_clISt17integral_constantIbLb1EES15_EEDaS10_S11_EUlS10_E_NS1_11comp_targetILNS1_3genE9ELNS1_11target_archE1100ELNS1_3gpuE3ELNS1_3repE0EEENS1_30default_config_static_selectorELNS0_4arch9wavefront6targetE0EEEvT1_
	.p2align	8
	.type	_ZN7rocprim17ROCPRIM_400000_NS6detail17trampoline_kernelINS0_14default_configENS1_27scan_by_key_config_selectorImiEEZZNS1_16scan_by_key_implILNS1_25lookback_scan_determinismE0ELb0ES3_N6thrust23THRUST_200600_302600_NS18transform_iteratorI9row_indexNS9_17counting_iteratorImNS9_11use_defaultESD_SD_EESD_SD_EENS9_6detail15normal_iteratorINS9_10device_ptrIiEEEESK_iNS9_4plusIvEENS9_8equal_toIvEEiEE10hipError_tPvRmT2_T3_T4_T5_mT6_T7_P12ihipStream_tbENKUlT_T0_E_clISt17integral_constantIbLb1EES15_EEDaS10_S11_EUlS10_E_NS1_11comp_targetILNS1_3genE9ELNS1_11target_archE1100ELNS1_3gpuE3ELNS1_3repE0EEENS1_30default_config_static_selectorELNS0_4arch9wavefront6targetE0EEEvT1_,@function
_ZN7rocprim17ROCPRIM_400000_NS6detail17trampoline_kernelINS0_14default_configENS1_27scan_by_key_config_selectorImiEEZZNS1_16scan_by_key_implILNS1_25lookback_scan_determinismE0ELb0ES3_N6thrust23THRUST_200600_302600_NS18transform_iteratorI9row_indexNS9_17counting_iteratorImNS9_11use_defaultESD_SD_EESD_SD_EENS9_6detail15normal_iteratorINS9_10device_ptrIiEEEESK_iNS9_4plusIvEENS9_8equal_toIvEEiEE10hipError_tPvRmT2_T3_T4_T5_mT6_T7_P12ihipStream_tbENKUlT_T0_E_clISt17integral_constantIbLb1EES15_EEDaS10_S11_EUlS10_E_NS1_11comp_targetILNS1_3genE9ELNS1_11target_archE1100ELNS1_3gpuE3ELNS1_3repE0EEENS1_30default_config_static_selectorELNS0_4arch9wavefront6targetE0EEEvT1_: ; @_ZN7rocprim17ROCPRIM_400000_NS6detail17trampoline_kernelINS0_14default_configENS1_27scan_by_key_config_selectorImiEEZZNS1_16scan_by_key_implILNS1_25lookback_scan_determinismE0ELb0ES3_N6thrust23THRUST_200600_302600_NS18transform_iteratorI9row_indexNS9_17counting_iteratorImNS9_11use_defaultESD_SD_EESD_SD_EENS9_6detail15normal_iteratorINS9_10device_ptrIiEEEESK_iNS9_4plusIvEENS9_8equal_toIvEEiEE10hipError_tPvRmT2_T3_T4_T5_mT6_T7_P12ihipStream_tbENKUlT_T0_E_clISt17integral_constantIbLb1EES15_EEDaS10_S11_EUlS10_E_NS1_11comp_targetILNS1_3genE9ELNS1_11target_archE1100ELNS1_3gpuE3ELNS1_3repE0EEENS1_30default_config_static_selectorELNS0_4arch9wavefront6targetE0EEEvT1_
; %bb.0:
	.section	.rodata,"a",@progbits
	.p2align	6, 0x0
	.amdhsa_kernel _ZN7rocprim17ROCPRIM_400000_NS6detail17trampoline_kernelINS0_14default_configENS1_27scan_by_key_config_selectorImiEEZZNS1_16scan_by_key_implILNS1_25lookback_scan_determinismE0ELb0ES3_N6thrust23THRUST_200600_302600_NS18transform_iteratorI9row_indexNS9_17counting_iteratorImNS9_11use_defaultESD_SD_EESD_SD_EENS9_6detail15normal_iteratorINS9_10device_ptrIiEEEESK_iNS9_4plusIvEENS9_8equal_toIvEEiEE10hipError_tPvRmT2_T3_T4_T5_mT6_T7_P12ihipStream_tbENKUlT_T0_E_clISt17integral_constantIbLb1EES15_EEDaS10_S11_EUlS10_E_NS1_11comp_targetILNS1_3genE9ELNS1_11target_archE1100ELNS1_3gpuE3ELNS1_3repE0EEENS1_30default_config_static_selectorELNS0_4arch9wavefront6targetE0EEEvT1_
		.amdhsa_group_segment_fixed_size 0
		.amdhsa_private_segment_fixed_size 0
		.amdhsa_kernarg_size 120
		.amdhsa_user_sgpr_count 6
		.amdhsa_user_sgpr_private_segment_buffer 1
		.amdhsa_user_sgpr_dispatch_ptr 0
		.amdhsa_user_sgpr_queue_ptr 0
		.amdhsa_user_sgpr_kernarg_segment_ptr 1
		.amdhsa_user_sgpr_dispatch_id 0
		.amdhsa_user_sgpr_flat_scratch_init 0
		.amdhsa_user_sgpr_private_segment_size 0
		.amdhsa_wavefront_size32 1
		.amdhsa_uses_dynamic_stack 0
		.amdhsa_system_sgpr_private_segment_wavefront_offset 0
		.amdhsa_system_sgpr_workgroup_id_x 1
		.amdhsa_system_sgpr_workgroup_id_y 0
		.amdhsa_system_sgpr_workgroup_id_z 0
		.amdhsa_system_sgpr_workgroup_info 0
		.amdhsa_system_vgpr_workitem_id 0
		.amdhsa_next_free_vgpr 1
		.amdhsa_next_free_sgpr 1
		.amdhsa_reserve_vcc 0
		.amdhsa_reserve_flat_scratch 0
		.amdhsa_float_round_mode_32 0
		.amdhsa_float_round_mode_16_64 0
		.amdhsa_float_denorm_mode_32 3
		.amdhsa_float_denorm_mode_16_64 3
		.amdhsa_dx10_clamp 1
		.amdhsa_ieee_mode 1
		.amdhsa_fp16_overflow 0
		.amdhsa_workgroup_processor_mode 1
		.amdhsa_memory_ordered 1
		.amdhsa_forward_progress 1
		.amdhsa_shared_vgpr_count 0
		.amdhsa_exception_fp_ieee_invalid_op 0
		.amdhsa_exception_fp_denorm_src 0
		.amdhsa_exception_fp_ieee_div_zero 0
		.amdhsa_exception_fp_ieee_overflow 0
		.amdhsa_exception_fp_ieee_underflow 0
		.amdhsa_exception_fp_ieee_inexact 0
		.amdhsa_exception_int_div_zero 0
	.end_amdhsa_kernel
	.section	.text._ZN7rocprim17ROCPRIM_400000_NS6detail17trampoline_kernelINS0_14default_configENS1_27scan_by_key_config_selectorImiEEZZNS1_16scan_by_key_implILNS1_25lookback_scan_determinismE0ELb0ES3_N6thrust23THRUST_200600_302600_NS18transform_iteratorI9row_indexNS9_17counting_iteratorImNS9_11use_defaultESD_SD_EESD_SD_EENS9_6detail15normal_iteratorINS9_10device_ptrIiEEEESK_iNS9_4plusIvEENS9_8equal_toIvEEiEE10hipError_tPvRmT2_T3_T4_T5_mT6_T7_P12ihipStream_tbENKUlT_T0_E_clISt17integral_constantIbLb1EES15_EEDaS10_S11_EUlS10_E_NS1_11comp_targetILNS1_3genE9ELNS1_11target_archE1100ELNS1_3gpuE3ELNS1_3repE0EEENS1_30default_config_static_selectorELNS0_4arch9wavefront6targetE0EEEvT1_,"axG",@progbits,_ZN7rocprim17ROCPRIM_400000_NS6detail17trampoline_kernelINS0_14default_configENS1_27scan_by_key_config_selectorImiEEZZNS1_16scan_by_key_implILNS1_25lookback_scan_determinismE0ELb0ES3_N6thrust23THRUST_200600_302600_NS18transform_iteratorI9row_indexNS9_17counting_iteratorImNS9_11use_defaultESD_SD_EESD_SD_EENS9_6detail15normal_iteratorINS9_10device_ptrIiEEEESK_iNS9_4plusIvEENS9_8equal_toIvEEiEE10hipError_tPvRmT2_T3_T4_T5_mT6_T7_P12ihipStream_tbENKUlT_T0_E_clISt17integral_constantIbLb1EES15_EEDaS10_S11_EUlS10_E_NS1_11comp_targetILNS1_3genE9ELNS1_11target_archE1100ELNS1_3gpuE3ELNS1_3repE0EEENS1_30default_config_static_selectorELNS0_4arch9wavefront6targetE0EEEvT1_,comdat
.Lfunc_end21:
	.size	_ZN7rocprim17ROCPRIM_400000_NS6detail17trampoline_kernelINS0_14default_configENS1_27scan_by_key_config_selectorImiEEZZNS1_16scan_by_key_implILNS1_25lookback_scan_determinismE0ELb0ES3_N6thrust23THRUST_200600_302600_NS18transform_iteratorI9row_indexNS9_17counting_iteratorImNS9_11use_defaultESD_SD_EESD_SD_EENS9_6detail15normal_iteratorINS9_10device_ptrIiEEEESK_iNS9_4plusIvEENS9_8equal_toIvEEiEE10hipError_tPvRmT2_T3_T4_T5_mT6_T7_P12ihipStream_tbENKUlT_T0_E_clISt17integral_constantIbLb1EES15_EEDaS10_S11_EUlS10_E_NS1_11comp_targetILNS1_3genE9ELNS1_11target_archE1100ELNS1_3gpuE3ELNS1_3repE0EEENS1_30default_config_static_selectorELNS0_4arch9wavefront6targetE0EEEvT1_, .Lfunc_end21-_ZN7rocprim17ROCPRIM_400000_NS6detail17trampoline_kernelINS0_14default_configENS1_27scan_by_key_config_selectorImiEEZZNS1_16scan_by_key_implILNS1_25lookback_scan_determinismE0ELb0ES3_N6thrust23THRUST_200600_302600_NS18transform_iteratorI9row_indexNS9_17counting_iteratorImNS9_11use_defaultESD_SD_EESD_SD_EENS9_6detail15normal_iteratorINS9_10device_ptrIiEEEESK_iNS9_4plusIvEENS9_8equal_toIvEEiEE10hipError_tPvRmT2_T3_T4_T5_mT6_T7_P12ihipStream_tbENKUlT_T0_E_clISt17integral_constantIbLb1EES15_EEDaS10_S11_EUlS10_E_NS1_11comp_targetILNS1_3genE9ELNS1_11target_archE1100ELNS1_3gpuE3ELNS1_3repE0EEENS1_30default_config_static_selectorELNS0_4arch9wavefront6targetE0EEEvT1_
                                        ; -- End function
	.set _ZN7rocprim17ROCPRIM_400000_NS6detail17trampoline_kernelINS0_14default_configENS1_27scan_by_key_config_selectorImiEEZZNS1_16scan_by_key_implILNS1_25lookback_scan_determinismE0ELb0ES3_N6thrust23THRUST_200600_302600_NS18transform_iteratorI9row_indexNS9_17counting_iteratorImNS9_11use_defaultESD_SD_EESD_SD_EENS9_6detail15normal_iteratorINS9_10device_ptrIiEEEESK_iNS9_4plusIvEENS9_8equal_toIvEEiEE10hipError_tPvRmT2_T3_T4_T5_mT6_T7_P12ihipStream_tbENKUlT_T0_E_clISt17integral_constantIbLb1EES15_EEDaS10_S11_EUlS10_E_NS1_11comp_targetILNS1_3genE9ELNS1_11target_archE1100ELNS1_3gpuE3ELNS1_3repE0EEENS1_30default_config_static_selectorELNS0_4arch9wavefront6targetE0EEEvT1_.num_vgpr, 0
	.set _ZN7rocprim17ROCPRIM_400000_NS6detail17trampoline_kernelINS0_14default_configENS1_27scan_by_key_config_selectorImiEEZZNS1_16scan_by_key_implILNS1_25lookback_scan_determinismE0ELb0ES3_N6thrust23THRUST_200600_302600_NS18transform_iteratorI9row_indexNS9_17counting_iteratorImNS9_11use_defaultESD_SD_EESD_SD_EENS9_6detail15normal_iteratorINS9_10device_ptrIiEEEESK_iNS9_4plusIvEENS9_8equal_toIvEEiEE10hipError_tPvRmT2_T3_T4_T5_mT6_T7_P12ihipStream_tbENKUlT_T0_E_clISt17integral_constantIbLb1EES15_EEDaS10_S11_EUlS10_E_NS1_11comp_targetILNS1_3genE9ELNS1_11target_archE1100ELNS1_3gpuE3ELNS1_3repE0EEENS1_30default_config_static_selectorELNS0_4arch9wavefront6targetE0EEEvT1_.num_agpr, 0
	.set _ZN7rocprim17ROCPRIM_400000_NS6detail17trampoline_kernelINS0_14default_configENS1_27scan_by_key_config_selectorImiEEZZNS1_16scan_by_key_implILNS1_25lookback_scan_determinismE0ELb0ES3_N6thrust23THRUST_200600_302600_NS18transform_iteratorI9row_indexNS9_17counting_iteratorImNS9_11use_defaultESD_SD_EESD_SD_EENS9_6detail15normal_iteratorINS9_10device_ptrIiEEEESK_iNS9_4plusIvEENS9_8equal_toIvEEiEE10hipError_tPvRmT2_T3_T4_T5_mT6_T7_P12ihipStream_tbENKUlT_T0_E_clISt17integral_constantIbLb1EES15_EEDaS10_S11_EUlS10_E_NS1_11comp_targetILNS1_3genE9ELNS1_11target_archE1100ELNS1_3gpuE3ELNS1_3repE0EEENS1_30default_config_static_selectorELNS0_4arch9wavefront6targetE0EEEvT1_.numbered_sgpr, 0
	.set _ZN7rocprim17ROCPRIM_400000_NS6detail17trampoline_kernelINS0_14default_configENS1_27scan_by_key_config_selectorImiEEZZNS1_16scan_by_key_implILNS1_25lookback_scan_determinismE0ELb0ES3_N6thrust23THRUST_200600_302600_NS18transform_iteratorI9row_indexNS9_17counting_iteratorImNS9_11use_defaultESD_SD_EESD_SD_EENS9_6detail15normal_iteratorINS9_10device_ptrIiEEEESK_iNS9_4plusIvEENS9_8equal_toIvEEiEE10hipError_tPvRmT2_T3_T4_T5_mT6_T7_P12ihipStream_tbENKUlT_T0_E_clISt17integral_constantIbLb1EES15_EEDaS10_S11_EUlS10_E_NS1_11comp_targetILNS1_3genE9ELNS1_11target_archE1100ELNS1_3gpuE3ELNS1_3repE0EEENS1_30default_config_static_selectorELNS0_4arch9wavefront6targetE0EEEvT1_.num_named_barrier, 0
	.set _ZN7rocprim17ROCPRIM_400000_NS6detail17trampoline_kernelINS0_14default_configENS1_27scan_by_key_config_selectorImiEEZZNS1_16scan_by_key_implILNS1_25lookback_scan_determinismE0ELb0ES3_N6thrust23THRUST_200600_302600_NS18transform_iteratorI9row_indexNS9_17counting_iteratorImNS9_11use_defaultESD_SD_EESD_SD_EENS9_6detail15normal_iteratorINS9_10device_ptrIiEEEESK_iNS9_4plusIvEENS9_8equal_toIvEEiEE10hipError_tPvRmT2_T3_T4_T5_mT6_T7_P12ihipStream_tbENKUlT_T0_E_clISt17integral_constantIbLb1EES15_EEDaS10_S11_EUlS10_E_NS1_11comp_targetILNS1_3genE9ELNS1_11target_archE1100ELNS1_3gpuE3ELNS1_3repE0EEENS1_30default_config_static_selectorELNS0_4arch9wavefront6targetE0EEEvT1_.private_seg_size, 0
	.set _ZN7rocprim17ROCPRIM_400000_NS6detail17trampoline_kernelINS0_14default_configENS1_27scan_by_key_config_selectorImiEEZZNS1_16scan_by_key_implILNS1_25lookback_scan_determinismE0ELb0ES3_N6thrust23THRUST_200600_302600_NS18transform_iteratorI9row_indexNS9_17counting_iteratorImNS9_11use_defaultESD_SD_EESD_SD_EENS9_6detail15normal_iteratorINS9_10device_ptrIiEEEESK_iNS9_4plusIvEENS9_8equal_toIvEEiEE10hipError_tPvRmT2_T3_T4_T5_mT6_T7_P12ihipStream_tbENKUlT_T0_E_clISt17integral_constantIbLb1EES15_EEDaS10_S11_EUlS10_E_NS1_11comp_targetILNS1_3genE9ELNS1_11target_archE1100ELNS1_3gpuE3ELNS1_3repE0EEENS1_30default_config_static_selectorELNS0_4arch9wavefront6targetE0EEEvT1_.uses_vcc, 0
	.set _ZN7rocprim17ROCPRIM_400000_NS6detail17trampoline_kernelINS0_14default_configENS1_27scan_by_key_config_selectorImiEEZZNS1_16scan_by_key_implILNS1_25lookback_scan_determinismE0ELb0ES3_N6thrust23THRUST_200600_302600_NS18transform_iteratorI9row_indexNS9_17counting_iteratorImNS9_11use_defaultESD_SD_EESD_SD_EENS9_6detail15normal_iteratorINS9_10device_ptrIiEEEESK_iNS9_4plusIvEENS9_8equal_toIvEEiEE10hipError_tPvRmT2_T3_T4_T5_mT6_T7_P12ihipStream_tbENKUlT_T0_E_clISt17integral_constantIbLb1EES15_EEDaS10_S11_EUlS10_E_NS1_11comp_targetILNS1_3genE9ELNS1_11target_archE1100ELNS1_3gpuE3ELNS1_3repE0EEENS1_30default_config_static_selectorELNS0_4arch9wavefront6targetE0EEEvT1_.uses_flat_scratch, 0
	.set _ZN7rocprim17ROCPRIM_400000_NS6detail17trampoline_kernelINS0_14default_configENS1_27scan_by_key_config_selectorImiEEZZNS1_16scan_by_key_implILNS1_25lookback_scan_determinismE0ELb0ES3_N6thrust23THRUST_200600_302600_NS18transform_iteratorI9row_indexNS9_17counting_iteratorImNS9_11use_defaultESD_SD_EESD_SD_EENS9_6detail15normal_iteratorINS9_10device_ptrIiEEEESK_iNS9_4plusIvEENS9_8equal_toIvEEiEE10hipError_tPvRmT2_T3_T4_T5_mT6_T7_P12ihipStream_tbENKUlT_T0_E_clISt17integral_constantIbLb1EES15_EEDaS10_S11_EUlS10_E_NS1_11comp_targetILNS1_3genE9ELNS1_11target_archE1100ELNS1_3gpuE3ELNS1_3repE0EEENS1_30default_config_static_selectorELNS0_4arch9wavefront6targetE0EEEvT1_.has_dyn_sized_stack, 0
	.set _ZN7rocprim17ROCPRIM_400000_NS6detail17trampoline_kernelINS0_14default_configENS1_27scan_by_key_config_selectorImiEEZZNS1_16scan_by_key_implILNS1_25lookback_scan_determinismE0ELb0ES3_N6thrust23THRUST_200600_302600_NS18transform_iteratorI9row_indexNS9_17counting_iteratorImNS9_11use_defaultESD_SD_EESD_SD_EENS9_6detail15normal_iteratorINS9_10device_ptrIiEEEESK_iNS9_4plusIvEENS9_8equal_toIvEEiEE10hipError_tPvRmT2_T3_T4_T5_mT6_T7_P12ihipStream_tbENKUlT_T0_E_clISt17integral_constantIbLb1EES15_EEDaS10_S11_EUlS10_E_NS1_11comp_targetILNS1_3genE9ELNS1_11target_archE1100ELNS1_3gpuE3ELNS1_3repE0EEENS1_30default_config_static_selectorELNS0_4arch9wavefront6targetE0EEEvT1_.has_recursion, 0
	.set _ZN7rocprim17ROCPRIM_400000_NS6detail17trampoline_kernelINS0_14default_configENS1_27scan_by_key_config_selectorImiEEZZNS1_16scan_by_key_implILNS1_25lookback_scan_determinismE0ELb0ES3_N6thrust23THRUST_200600_302600_NS18transform_iteratorI9row_indexNS9_17counting_iteratorImNS9_11use_defaultESD_SD_EESD_SD_EENS9_6detail15normal_iteratorINS9_10device_ptrIiEEEESK_iNS9_4plusIvEENS9_8equal_toIvEEiEE10hipError_tPvRmT2_T3_T4_T5_mT6_T7_P12ihipStream_tbENKUlT_T0_E_clISt17integral_constantIbLb1EES15_EEDaS10_S11_EUlS10_E_NS1_11comp_targetILNS1_3genE9ELNS1_11target_archE1100ELNS1_3gpuE3ELNS1_3repE0EEENS1_30default_config_static_selectorELNS0_4arch9wavefront6targetE0EEEvT1_.has_indirect_call, 0
	.section	.AMDGPU.csdata,"",@progbits
; Kernel info:
; codeLenInByte = 0
; TotalNumSgprs: 0
; NumVgprs: 0
; ScratchSize: 0
; MemoryBound: 0
; FloatMode: 240
; IeeeMode: 1
; LDSByteSize: 0 bytes/workgroup (compile time only)
; SGPRBlocks: 0
; VGPRBlocks: 0
; NumSGPRsForWavesPerEU: 1
; NumVGPRsForWavesPerEU: 1
; Occupancy: 16
; WaveLimiterHint : 0
; COMPUTE_PGM_RSRC2:SCRATCH_EN: 0
; COMPUTE_PGM_RSRC2:USER_SGPR: 6
; COMPUTE_PGM_RSRC2:TRAP_HANDLER: 0
; COMPUTE_PGM_RSRC2:TGID_X_EN: 1
; COMPUTE_PGM_RSRC2:TGID_Y_EN: 0
; COMPUTE_PGM_RSRC2:TGID_Z_EN: 0
; COMPUTE_PGM_RSRC2:TIDIG_COMP_CNT: 0
	.section	.text._ZN7rocprim17ROCPRIM_400000_NS6detail17trampoline_kernelINS0_14default_configENS1_27scan_by_key_config_selectorImiEEZZNS1_16scan_by_key_implILNS1_25lookback_scan_determinismE0ELb0ES3_N6thrust23THRUST_200600_302600_NS18transform_iteratorI9row_indexNS9_17counting_iteratorImNS9_11use_defaultESD_SD_EESD_SD_EENS9_6detail15normal_iteratorINS9_10device_ptrIiEEEESK_iNS9_4plusIvEENS9_8equal_toIvEEiEE10hipError_tPvRmT2_T3_T4_T5_mT6_T7_P12ihipStream_tbENKUlT_T0_E_clISt17integral_constantIbLb1EES15_EEDaS10_S11_EUlS10_E_NS1_11comp_targetILNS1_3genE8ELNS1_11target_archE1030ELNS1_3gpuE2ELNS1_3repE0EEENS1_30default_config_static_selectorELNS0_4arch9wavefront6targetE0EEEvT1_,"axG",@progbits,_ZN7rocprim17ROCPRIM_400000_NS6detail17trampoline_kernelINS0_14default_configENS1_27scan_by_key_config_selectorImiEEZZNS1_16scan_by_key_implILNS1_25lookback_scan_determinismE0ELb0ES3_N6thrust23THRUST_200600_302600_NS18transform_iteratorI9row_indexNS9_17counting_iteratorImNS9_11use_defaultESD_SD_EESD_SD_EENS9_6detail15normal_iteratorINS9_10device_ptrIiEEEESK_iNS9_4plusIvEENS9_8equal_toIvEEiEE10hipError_tPvRmT2_T3_T4_T5_mT6_T7_P12ihipStream_tbENKUlT_T0_E_clISt17integral_constantIbLb1EES15_EEDaS10_S11_EUlS10_E_NS1_11comp_targetILNS1_3genE8ELNS1_11target_archE1030ELNS1_3gpuE2ELNS1_3repE0EEENS1_30default_config_static_selectorELNS0_4arch9wavefront6targetE0EEEvT1_,comdat
	.protected	_ZN7rocprim17ROCPRIM_400000_NS6detail17trampoline_kernelINS0_14default_configENS1_27scan_by_key_config_selectorImiEEZZNS1_16scan_by_key_implILNS1_25lookback_scan_determinismE0ELb0ES3_N6thrust23THRUST_200600_302600_NS18transform_iteratorI9row_indexNS9_17counting_iteratorImNS9_11use_defaultESD_SD_EESD_SD_EENS9_6detail15normal_iteratorINS9_10device_ptrIiEEEESK_iNS9_4plusIvEENS9_8equal_toIvEEiEE10hipError_tPvRmT2_T3_T4_T5_mT6_T7_P12ihipStream_tbENKUlT_T0_E_clISt17integral_constantIbLb1EES15_EEDaS10_S11_EUlS10_E_NS1_11comp_targetILNS1_3genE8ELNS1_11target_archE1030ELNS1_3gpuE2ELNS1_3repE0EEENS1_30default_config_static_selectorELNS0_4arch9wavefront6targetE0EEEvT1_ ; -- Begin function _ZN7rocprim17ROCPRIM_400000_NS6detail17trampoline_kernelINS0_14default_configENS1_27scan_by_key_config_selectorImiEEZZNS1_16scan_by_key_implILNS1_25lookback_scan_determinismE0ELb0ES3_N6thrust23THRUST_200600_302600_NS18transform_iteratorI9row_indexNS9_17counting_iteratorImNS9_11use_defaultESD_SD_EESD_SD_EENS9_6detail15normal_iteratorINS9_10device_ptrIiEEEESK_iNS9_4plusIvEENS9_8equal_toIvEEiEE10hipError_tPvRmT2_T3_T4_T5_mT6_T7_P12ihipStream_tbENKUlT_T0_E_clISt17integral_constantIbLb1EES15_EEDaS10_S11_EUlS10_E_NS1_11comp_targetILNS1_3genE8ELNS1_11target_archE1030ELNS1_3gpuE2ELNS1_3repE0EEENS1_30default_config_static_selectorELNS0_4arch9wavefront6targetE0EEEvT1_
	.globl	_ZN7rocprim17ROCPRIM_400000_NS6detail17trampoline_kernelINS0_14default_configENS1_27scan_by_key_config_selectorImiEEZZNS1_16scan_by_key_implILNS1_25lookback_scan_determinismE0ELb0ES3_N6thrust23THRUST_200600_302600_NS18transform_iteratorI9row_indexNS9_17counting_iteratorImNS9_11use_defaultESD_SD_EESD_SD_EENS9_6detail15normal_iteratorINS9_10device_ptrIiEEEESK_iNS9_4plusIvEENS9_8equal_toIvEEiEE10hipError_tPvRmT2_T3_T4_T5_mT6_T7_P12ihipStream_tbENKUlT_T0_E_clISt17integral_constantIbLb1EES15_EEDaS10_S11_EUlS10_E_NS1_11comp_targetILNS1_3genE8ELNS1_11target_archE1030ELNS1_3gpuE2ELNS1_3repE0EEENS1_30default_config_static_selectorELNS0_4arch9wavefront6targetE0EEEvT1_
	.p2align	8
	.type	_ZN7rocprim17ROCPRIM_400000_NS6detail17trampoline_kernelINS0_14default_configENS1_27scan_by_key_config_selectorImiEEZZNS1_16scan_by_key_implILNS1_25lookback_scan_determinismE0ELb0ES3_N6thrust23THRUST_200600_302600_NS18transform_iteratorI9row_indexNS9_17counting_iteratorImNS9_11use_defaultESD_SD_EESD_SD_EENS9_6detail15normal_iteratorINS9_10device_ptrIiEEEESK_iNS9_4plusIvEENS9_8equal_toIvEEiEE10hipError_tPvRmT2_T3_T4_T5_mT6_T7_P12ihipStream_tbENKUlT_T0_E_clISt17integral_constantIbLb1EES15_EEDaS10_S11_EUlS10_E_NS1_11comp_targetILNS1_3genE8ELNS1_11target_archE1030ELNS1_3gpuE2ELNS1_3repE0EEENS1_30default_config_static_selectorELNS0_4arch9wavefront6targetE0EEEvT1_,@function
_ZN7rocprim17ROCPRIM_400000_NS6detail17trampoline_kernelINS0_14default_configENS1_27scan_by_key_config_selectorImiEEZZNS1_16scan_by_key_implILNS1_25lookback_scan_determinismE0ELb0ES3_N6thrust23THRUST_200600_302600_NS18transform_iteratorI9row_indexNS9_17counting_iteratorImNS9_11use_defaultESD_SD_EESD_SD_EENS9_6detail15normal_iteratorINS9_10device_ptrIiEEEESK_iNS9_4plusIvEENS9_8equal_toIvEEiEE10hipError_tPvRmT2_T3_T4_T5_mT6_T7_P12ihipStream_tbENKUlT_T0_E_clISt17integral_constantIbLb1EES15_EEDaS10_S11_EUlS10_E_NS1_11comp_targetILNS1_3genE8ELNS1_11target_archE1030ELNS1_3gpuE2ELNS1_3repE0EEENS1_30default_config_static_selectorELNS0_4arch9wavefront6targetE0EEEvT1_: ; @_ZN7rocprim17ROCPRIM_400000_NS6detail17trampoline_kernelINS0_14default_configENS1_27scan_by_key_config_selectorImiEEZZNS1_16scan_by_key_implILNS1_25lookback_scan_determinismE0ELb0ES3_N6thrust23THRUST_200600_302600_NS18transform_iteratorI9row_indexNS9_17counting_iteratorImNS9_11use_defaultESD_SD_EESD_SD_EENS9_6detail15normal_iteratorINS9_10device_ptrIiEEEESK_iNS9_4plusIvEENS9_8equal_toIvEEiEE10hipError_tPvRmT2_T3_T4_T5_mT6_T7_P12ihipStream_tbENKUlT_T0_E_clISt17integral_constantIbLb1EES15_EEDaS10_S11_EUlS10_E_NS1_11comp_targetILNS1_3genE8ELNS1_11target_archE1030ELNS1_3gpuE2ELNS1_3repE0EEENS1_30default_config_static_selectorELNS0_4arch9wavefront6targetE0EEEvT1_
; %bb.0:
	s_endpgm
	.section	.rodata,"a",@progbits
	.p2align	6, 0x0
	.amdhsa_kernel _ZN7rocprim17ROCPRIM_400000_NS6detail17trampoline_kernelINS0_14default_configENS1_27scan_by_key_config_selectorImiEEZZNS1_16scan_by_key_implILNS1_25lookback_scan_determinismE0ELb0ES3_N6thrust23THRUST_200600_302600_NS18transform_iteratorI9row_indexNS9_17counting_iteratorImNS9_11use_defaultESD_SD_EESD_SD_EENS9_6detail15normal_iteratorINS9_10device_ptrIiEEEESK_iNS9_4plusIvEENS9_8equal_toIvEEiEE10hipError_tPvRmT2_T3_T4_T5_mT6_T7_P12ihipStream_tbENKUlT_T0_E_clISt17integral_constantIbLb1EES15_EEDaS10_S11_EUlS10_E_NS1_11comp_targetILNS1_3genE8ELNS1_11target_archE1030ELNS1_3gpuE2ELNS1_3repE0EEENS1_30default_config_static_selectorELNS0_4arch9wavefront6targetE0EEEvT1_
		.amdhsa_group_segment_fixed_size 0
		.amdhsa_private_segment_fixed_size 0
		.amdhsa_kernarg_size 120
		.amdhsa_user_sgpr_count 6
		.amdhsa_user_sgpr_private_segment_buffer 1
		.amdhsa_user_sgpr_dispatch_ptr 0
		.amdhsa_user_sgpr_queue_ptr 0
		.amdhsa_user_sgpr_kernarg_segment_ptr 1
		.amdhsa_user_sgpr_dispatch_id 0
		.amdhsa_user_sgpr_flat_scratch_init 0
		.amdhsa_user_sgpr_private_segment_size 0
		.amdhsa_wavefront_size32 1
		.amdhsa_uses_dynamic_stack 0
		.amdhsa_system_sgpr_private_segment_wavefront_offset 0
		.amdhsa_system_sgpr_workgroup_id_x 1
		.amdhsa_system_sgpr_workgroup_id_y 0
		.amdhsa_system_sgpr_workgroup_id_z 0
		.amdhsa_system_sgpr_workgroup_info 0
		.amdhsa_system_vgpr_workitem_id 0
		.amdhsa_next_free_vgpr 1
		.amdhsa_next_free_sgpr 1
		.amdhsa_reserve_vcc 0
		.amdhsa_reserve_flat_scratch 0
		.amdhsa_float_round_mode_32 0
		.amdhsa_float_round_mode_16_64 0
		.amdhsa_float_denorm_mode_32 3
		.amdhsa_float_denorm_mode_16_64 3
		.amdhsa_dx10_clamp 1
		.amdhsa_ieee_mode 1
		.amdhsa_fp16_overflow 0
		.amdhsa_workgroup_processor_mode 1
		.amdhsa_memory_ordered 1
		.amdhsa_forward_progress 1
		.amdhsa_shared_vgpr_count 0
		.amdhsa_exception_fp_ieee_invalid_op 0
		.amdhsa_exception_fp_denorm_src 0
		.amdhsa_exception_fp_ieee_div_zero 0
		.amdhsa_exception_fp_ieee_overflow 0
		.amdhsa_exception_fp_ieee_underflow 0
		.amdhsa_exception_fp_ieee_inexact 0
		.amdhsa_exception_int_div_zero 0
	.end_amdhsa_kernel
	.section	.text._ZN7rocprim17ROCPRIM_400000_NS6detail17trampoline_kernelINS0_14default_configENS1_27scan_by_key_config_selectorImiEEZZNS1_16scan_by_key_implILNS1_25lookback_scan_determinismE0ELb0ES3_N6thrust23THRUST_200600_302600_NS18transform_iteratorI9row_indexNS9_17counting_iteratorImNS9_11use_defaultESD_SD_EESD_SD_EENS9_6detail15normal_iteratorINS9_10device_ptrIiEEEESK_iNS9_4plusIvEENS9_8equal_toIvEEiEE10hipError_tPvRmT2_T3_T4_T5_mT6_T7_P12ihipStream_tbENKUlT_T0_E_clISt17integral_constantIbLb1EES15_EEDaS10_S11_EUlS10_E_NS1_11comp_targetILNS1_3genE8ELNS1_11target_archE1030ELNS1_3gpuE2ELNS1_3repE0EEENS1_30default_config_static_selectorELNS0_4arch9wavefront6targetE0EEEvT1_,"axG",@progbits,_ZN7rocprim17ROCPRIM_400000_NS6detail17trampoline_kernelINS0_14default_configENS1_27scan_by_key_config_selectorImiEEZZNS1_16scan_by_key_implILNS1_25lookback_scan_determinismE0ELb0ES3_N6thrust23THRUST_200600_302600_NS18transform_iteratorI9row_indexNS9_17counting_iteratorImNS9_11use_defaultESD_SD_EESD_SD_EENS9_6detail15normal_iteratorINS9_10device_ptrIiEEEESK_iNS9_4plusIvEENS9_8equal_toIvEEiEE10hipError_tPvRmT2_T3_T4_T5_mT6_T7_P12ihipStream_tbENKUlT_T0_E_clISt17integral_constantIbLb1EES15_EEDaS10_S11_EUlS10_E_NS1_11comp_targetILNS1_3genE8ELNS1_11target_archE1030ELNS1_3gpuE2ELNS1_3repE0EEENS1_30default_config_static_selectorELNS0_4arch9wavefront6targetE0EEEvT1_,comdat
.Lfunc_end22:
	.size	_ZN7rocprim17ROCPRIM_400000_NS6detail17trampoline_kernelINS0_14default_configENS1_27scan_by_key_config_selectorImiEEZZNS1_16scan_by_key_implILNS1_25lookback_scan_determinismE0ELb0ES3_N6thrust23THRUST_200600_302600_NS18transform_iteratorI9row_indexNS9_17counting_iteratorImNS9_11use_defaultESD_SD_EESD_SD_EENS9_6detail15normal_iteratorINS9_10device_ptrIiEEEESK_iNS9_4plusIvEENS9_8equal_toIvEEiEE10hipError_tPvRmT2_T3_T4_T5_mT6_T7_P12ihipStream_tbENKUlT_T0_E_clISt17integral_constantIbLb1EES15_EEDaS10_S11_EUlS10_E_NS1_11comp_targetILNS1_3genE8ELNS1_11target_archE1030ELNS1_3gpuE2ELNS1_3repE0EEENS1_30default_config_static_selectorELNS0_4arch9wavefront6targetE0EEEvT1_, .Lfunc_end22-_ZN7rocprim17ROCPRIM_400000_NS6detail17trampoline_kernelINS0_14default_configENS1_27scan_by_key_config_selectorImiEEZZNS1_16scan_by_key_implILNS1_25lookback_scan_determinismE0ELb0ES3_N6thrust23THRUST_200600_302600_NS18transform_iteratorI9row_indexNS9_17counting_iteratorImNS9_11use_defaultESD_SD_EESD_SD_EENS9_6detail15normal_iteratorINS9_10device_ptrIiEEEESK_iNS9_4plusIvEENS9_8equal_toIvEEiEE10hipError_tPvRmT2_T3_T4_T5_mT6_T7_P12ihipStream_tbENKUlT_T0_E_clISt17integral_constantIbLb1EES15_EEDaS10_S11_EUlS10_E_NS1_11comp_targetILNS1_3genE8ELNS1_11target_archE1030ELNS1_3gpuE2ELNS1_3repE0EEENS1_30default_config_static_selectorELNS0_4arch9wavefront6targetE0EEEvT1_
                                        ; -- End function
	.set _ZN7rocprim17ROCPRIM_400000_NS6detail17trampoline_kernelINS0_14default_configENS1_27scan_by_key_config_selectorImiEEZZNS1_16scan_by_key_implILNS1_25lookback_scan_determinismE0ELb0ES3_N6thrust23THRUST_200600_302600_NS18transform_iteratorI9row_indexNS9_17counting_iteratorImNS9_11use_defaultESD_SD_EESD_SD_EENS9_6detail15normal_iteratorINS9_10device_ptrIiEEEESK_iNS9_4plusIvEENS9_8equal_toIvEEiEE10hipError_tPvRmT2_T3_T4_T5_mT6_T7_P12ihipStream_tbENKUlT_T0_E_clISt17integral_constantIbLb1EES15_EEDaS10_S11_EUlS10_E_NS1_11comp_targetILNS1_3genE8ELNS1_11target_archE1030ELNS1_3gpuE2ELNS1_3repE0EEENS1_30default_config_static_selectorELNS0_4arch9wavefront6targetE0EEEvT1_.num_vgpr, 0
	.set _ZN7rocprim17ROCPRIM_400000_NS6detail17trampoline_kernelINS0_14default_configENS1_27scan_by_key_config_selectorImiEEZZNS1_16scan_by_key_implILNS1_25lookback_scan_determinismE0ELb0ES3_N6thrust23THRUST_200600_302600_NS18transform_iteratorI9row_indexNS9_17counting_iteratorImNS9_11use_defaultESD_SD_EESD_SD_EENS9_6detail15normal_iteratorINS9_10device_ptrIiEEEESK_iNS9_4plusIvEENS9_8equal_toIvEEiEE10hipError_tPvRmT2_T3_T4_T5_mT6_T7_P12ihipStream_tbENKUlT_T0_E_clISt17integral_constantIbLb1EES15_EEDaS10_S11_EUlS10_E_NS1_11comp_targetILNS1_3genE8ELNS1_11target_archE1030ELNS1_3gpuE2ELNS1_3repE0EEENS1_30default_config_static_selectorELNS0_4arch9wavefront6targetE0EEEvT1_.num_agpr, 0
	.set _ZN7rocprim17ROCPRIM_400000_NS6detail17trampoline_kernelINS0_14default_configENS1_27scan_by_key_config_selectorImiEEZZNS1_16scan_by_key_implILNS1_25lookback_scan_determinismE0ELb0ES3_N6thrust23THRUST_200600_302600_NS18transform_iteratorI9row_indexNS9_17counting_iteratorImNS9_11use_defaultESD_SD_EESD_SD_EENS9_6detail15normal_iteratorINS9_10device_ptrIiEEEESK_iNS9_4plusIvEENS9_8equal_toIvEEiEE10hipError_tPvRmT2_T3_T4_T5_mT6_T7_P12ihipStream_tbENKUlT_T0_E_clISt17integral_constantIbLb1EES15_EEDaS10_S11_EUlS10_E_NS1_11comp_targetILNS1_3genE8ELNS1_11target_archE1030ELNS1_3gpuE2ELNS1_3repE0EEENS1_30default_config_static_selectorELNS0_4arch9wavefront6targetE0EEEvT1_.numbered_sgpr, 0
	.set _ZN7rocprim17ROCPRIM_400000_NS6detail17trampoline_kernelINS0_14default_configENS1_27scan_by_key_config_selectorImiEEZZNS1_16scan_by_key_implILNS1_25lookback_scan_determinismE0ELb0ES3_N6thrust23THRUST_200600_302600_NS18transform_iteratorI9row_indexNS9_17counting_iteratorImNS9_11use_defaultESD_SD_EESD_SD_EENS9_6detail15normal_iteratorINS9_10device_ptrIiEEEESK_iNS9_4plusIvEENS9_8equal_toIvEEiEE10hipError_tPvRmT2_T3_T4_T5_mT6_T7_P12ihipStream_tbENKUlT_T0_E_clISt17integral_constantIbLb1EES15_EEDaS10_S11_EUlS10_E_NS1_11comp_targetILNS1_3genE8ELNS1_11target_archE1030ELNS1_3gpuE2ELNS1_3repE0EEENS1_30default_config_static_selectorELNS0_4arch9wavefront6targetE0EEEvT1_.num_named_barrier, 0
	.set _ZN7rocprim17ROCPRIM_400000_NS6detail17trampoline_kernelINS0_14default_configENS1_27scan_by_key_config_selectorImiEEZZNS1_16scan_by_key_implILNS1_25lookback_scan_determinismE0ELb0ES3_N6thrust23THRUST_200600_302600_NS18transform_iteratorI9row_indexNS9_17counting_iteratorImNS9_11use_defaultESD_SD_EESD_SD_EENS9_6detail15normal_iteratorINS9_10device_ptrIiEEEESK_iNS9_4plusIvEENS9_8equal_toIvEEiEE10hipError_tPvRmT2_T3_T4_T5_mT6_T7_P12ihipStream_tbENKUlT_T0_E_clISt17integral_constantIbLb1EES15_EEDaS10_S11_EUlS10_E_NS1_11comp_targetILNS1_3genE8ELNS1_11target_archE1030ELNS1_3gpuE2ELNS1_3repE0EEENS1_30default_config_static_selectorELNS0_4arch9wavefront6targetE0EEEvT1_.private_seg_size, 0
	.set _ZN7rocprim17ROCPRIM_400000_NS6detail17trampoline_kernelINS0_14default_configENS1_27scan_by_key_config_selectorImiEEZZNS1_16scan_by_key_implILNS1_25lookback_scan_determinismE0ELb0ES3_N6thrust23THRUST_200600_302600_NS18transform_iteratorI9row_indexNS9_17counting_iteratorImNS9_11use_defaultESD_SD_EESD_SD_EENS9_6detail15normal_iteratorINS9_10device_ptrIiEEEESK_iNS9_4plusIvEENS9_8equal_toIvEEiEE10hipError_tPvRmT2_T3_T4_T5_mT6_T7_P12ihipStream_tbENKUlT_T0_E_clISt17integral_constantIbLb1EES15_EEDaS10_S11_EUlS10_E_NS1_11comp_targetILNS1_3genE8ELNS1_11target_archE1030ELNS1_3gpuE2ELNS1_3repE0EEENS1_30default_config_static_selectorELNS0_4arch9wavefront6targetE0EEEvT1_.uses_vcc, 0
	.set _ZN7rocprim17ROCPRIM_400000_NS6detail17trampoline_kernelINS0_14default_configENS1_27scan_by_key_config_selectorImiEEZZNS1_16scan_by_key_implILNS1_25lookback_scan_determinismE0ELb0ES3_N6thrust23THRUST_200600_302600_NS18transform_iteratorI9row_indexNS9_17counting_iteratorImNS9_11use_defaultESD_SD_EESD_SD_EENS9_6detail15normal_iteratorINS9_10device_ptrIiEEEESK_iNS9_4plusIvEENS9_8equal_toIvEEiEE10hipError_tPvRmT2_T3_T4_T5_mT6_T7_P12ihipStream_tbENKUlT_T0_E_clISt17integral_constantIbLb1EES15_EEDaS10_S11_EUlS10_E_NS1_11comp_targetILNS1_3genE8ELNS1_11target_archE1030ELNS1_3gpuE2ELNS1_3repE0EEENS1_30default_config_static_selectorELNS0_4arch9wavefront6targetE0EEEvT1_.uses_flat_scratch, 0
	.set _ZN7rocprim17ROCPRIM_400000_NS6detail17trampoline_kernelINS0_14default_configENS1_27scan_by_key_config_selectorImiEEZZNS1_16scan_by_key_implILNS1_25lookback_scan_determinismE0ELb0ES3_N6thrust23THRUST_200600_302600_NS18transform_iteratorI9row_indexNS9_17counting_iteratorImNS9_11use_defaultESD_SD_EESD_SD_EENS9_6detail15normal_iteratorINS9_10device_ptrIiEEEESK_iNS9_4plusIvEENS9_8equal_toIvEEiEE10hipError_tPvRmT2_T3_T4_T5_mT6_T7_P12ihipStream_tbENKUlT_T0_E_clISt17integral_constantIbLb1EES15_EEDaS10_S11_EUlS10_E_NS1_11comp_targetILNS1_3genE8ELNS1_11target_archE1030ELNS1_3gpuE2ELNS1_3repE0EEENS1_30default_config_static_selectorELNS0_4arch9wavefront6targetE0EEEvT1_.has_dyn_sized_stack, 0
	.set _ZN7rocprim17ROCPRIM_400000_NS6detail17trampoline_kernelINS0_14default_configENS1_27scan_by_key_config_selectorImiEEZZNS1_16scan_by_key_implILNS1_25lookback_scan_determinismE0ELb0ES3_N6thrust23THRUST_200600_302600_NS18transform_iteratorI9row_indexNS9_17counting_iteratorImNS9_11use_defaultESD_SD_EESD_SD_EENS9_6detail15normal_iteratorINS9_10device_ptrIiEEEESK_iNS9_4plusIvEENS9_8equal_toIvEEiEE10hipError_tPvRmT2_T3_T4_T5_mT6_T7_P12ihipStream_tbENKUlT_T0_E_clISt17integral_constantIbLb1EES15_EEDaS10_S11_EUlS10_E_NS1_11comp_targetILNS1_3genE8ELNS1_11target_archE1030ELNS1_3gpuE2ELNS1_3repE0EEENS1_30default_config_static_selectorELNS0_4arch9wavefront6targetE0EEEvT1_.has_recursion, 0
	.set _ZN7rocprim17ROCPRIM_400000_NS6detail17trampoline_kernelINS0_14default_configENS1_27scan_by_key_config_selectorImiEEZZNS1_16scan_by_key_implILNS1_25lookback_scan_determinismE0ELb0ES3_N6thrust23THRUST_200600_302600_NS18transform_iteratorI9row_indexNS9_17counting_iteratorImNS9_11use_defaultESD_SD_EESD_SD_EENS9_6detail15normal_iteratorINS9_10device_ptrIiEEEESK_iNS9_4plusIvEENS9_8equal_toIvEEiEE10hipError_tPvRmT2_T3_T4_T5_mT6_T7_P12ihipStream_tbENKUlT_T0_E_clISt17integral_constantIbLb1EES15_EEDaS10_S11_EUlS10_E_NS1_11comp_targetILNS1_3genE8ELNS1_11target_archE1030ELNS1_3gpuE2ELNS1_3repE0EEENS1_30default_config_static_selectorELNS0_4arch9wavefront6targetE0EEEvT1_.has_indirect_call, 0
	.section	.AMDGPU.csdata,"",@progbits
; Kernel info:
; codeLenInByte = 4
; TotalNumSgprs: 0
; NumVgprs: 0
; ScratchSize: 0
; MemoryBound: 0
; FloatMode: 240
; IeeeMode: 1
; LDSByteSize: 0 bytes/workgroup (compile time only)
; SGPRBlocks: 0
; VGPRBlocks: 0
; NumSGPRsForWavesPerEU: 1
; NumVGPRsForWavesPerEU: 1
; Occupancy: 16
; WaveLimiterHint : 0
; COMPUTE_PGM_RSRC2:SCRATCH_EN: 0
; COMPUTE_PGM_RSRC2:USER_SGPR: 6
; COMPUTE_PGM_RSRC2:TRAP_HANDLER: 0
; COMPUTE_PGM_RSRC2:TGID_X_EN: 1
; COMPUTE_PGM_RSRC2:TGID_Y_EN: 0
; COMPUTE_PGM_RSRC2:TGID_Z_EN: 0
; COMPUTE_PGM_RSRC2:TIDIG_COMP_CNT: 0
	.section	.text._ZN7rocprim17ROCPRIM_400000_NS6detail30init_device_scan_by_key_kernelINS1_19lookback_scan_stateINS0_5tupleIJibEEELb1ELb1EEEN6thrust23THRUST_200600_302600_NS18transform_iteratorI9row_indexNS8_17counting_iteratorImNS8_11use_defaultESC_SC_EESC_SC_EEjNS1_16block_id_wrapperIjLb0EEEEEvT_jjPNSH_10value_typeET0_PNSt15iterator_traitsISK_E10value_typeEmT1_T2_,"axG",@progbits,_ZN7rocprim17ROCPRIM_400000_NS6detail30init_device_scan_by_key_kernelINS1_19lookback_scan_stateINS0_5tupleIJibEEELb1ELb1EEEN6thrust23THRUST_200600_302600_NS18transform_iteratorI9row_indexNS8_17counting_iteratorImNS8_11use_defaultESC_SC_EESC_SC_EEjNS1_16block_id_wrapperIjLb0EEEEEvT_jjPNSH_10value_typeET0_PNSt15iterator_traitsISK_E10value_typeEmT1_T2_,comdat
	.protected	_ZN7rocprim17ROCPRIM_400000_NS6detail30init_device_scan_by_key_kernelINS1_19lookback_scan_stateINS0_5tupleIJibEEELb1ELb1EEEN6thrust23THRUST_200600_302600_NS18transform_iteratorI9row_indexNS8_17counting_iteratorImNS8_11use_defaultESC_SC_EESC_SC_EEjNS1_16block_id_wrapperIjLb0EEEEEvT_jjPNSH_10value_typeET0_PNSt15iterator_traitsISK_E10value_typeEmT1_T2_ ; -- Begin function _ZN7rocprim17ROCPRIM_400000_NS6detail30init_device_scan_by_key_kernelINS1_19lookback_scan_stateINS0_5tupleIJibEEELb1ELb1EEEN6thrust23THRUST_200600_302600_NS18transform_iteratorI9row_indexNS8_17counting_iteratorImNS8_11use_defaultESC_SC_EESC_SC_EEjNS1_16block_id_wrapperIjLb0EEEEEvT_jjPNSH_10value_typeET0_PNSt15iterator_traitsISK_E10value_typeEmT1_T2_
	.globl	_ZN7rocprim17ROCPRIM_400000_NS6detail30init_device_scan_by_key_kernelINS1_19lookback_scan_stateINS0_5tupleIJibEEELb1ELb1EEEN6thrust23THRUST_200600_302600_NS18transform_iteratorI9row_indexNS8_17counting_iteratorImNS8_11use_defaultESC_SC_EESC_SC_EEjNS1_16block_id_wrapperIjLb0EEEEEvT_jjPNSH_10value_typeET0_PNSt15iterator_traitsISK_E10value_typeEmT1_T2_
	.p2align	8
	.type	_ZN7rocprim17ROCPRIM_400000_NS6detail30init_device_scan_by_key_kernelINS1_19lookback_scan_stateINS0_5tupleIJibEEELb1ELb1EEEN6thrust23THRUST_200600_302600_NS18transform_iteratorI9row_indexNS8_17counting_iteratorImNS8_11use_defaultESC_SC_EESC_SC_EEjNS1_16block_id_wrapperIjLb0EEEEEvT_jjPNSH_10value_typeET0_PNSt15iterator_traitsISK_E10value_typeEmT1_T2_,@function
_ZN7rocprim17ROCPRIM_400000_NS6detail30init_device_scan_by_key_kernelINS1_19lookback_scan_stateINS0_5tupleIJibEEELb1ELb1EEEN6thrust23THRUST_200600_302600_NS18transform_iteratorI9row_indexNS8_17counting_iteratorImNS8_11use_defaultESC_SC_EESC_SC_EEjNS1_16block_id_wrapperIjLb0EEEEEvT_jjPNSH_10value_typeET0_PNSt15iterator_traitsISK_E10value_typeEmT1_T2_: ; @_ZN7rocprim17ROCPRIM_400000_NS6detail30init_device_scan_by_key_kernelINS1_19lookback_scan_stateINS0_5tupleIJibEEELb1ELb1EEEN6thrust23THRUST_200600_302600_NS18transform_iteratorI9row_indexNS8_17counting_iteratorImNS8_11use_defaultESC_SC_EESC_SC_EEjNS1_16block_id_wrapperIjLb0EEEEEvT_jjPNSH_10value_typeET0_PNSt15iterator_traitsISK_E10value_typeEmT1_T2_
; %bb.0:
	s_clause 0x2
	s_load_dword s0, s[4:5], 0x4c
	s_load_dwordx8 s[8:15], s[4:5], 0x0
	s_load_dword s7, s[4:5], 0x40
	s_waitcnt lgkmcnt(0)
	s_and_b32 s16, s0, 0xffff
	s_cmp_eq_u64 s[12:13], 0
	v_mad_u64_u32 v[4:5], null, s6, s16, v[0:1]
	s_cbranch_scc1 .LBB23_10
; %bb.1:
	s_cmp_lt_u32 s11, s10
	s_mov_b32 s1, 0
	s_cselect_b32 s0, s11, 0
	s_mov_b32 s2, exec_lo
	v_cmpx_eq_u32_e64 s0, v4
	s_cbranch_execz .LBB23_9
; %bb.2:
	s_add_i32 s0, s11, 32
	v_mov_b32_e32 v6, 0
	s_lshl_b64 s[0:1], s[0:1], 4
	s_mov_b32 s3, exec_lo
	s_add_u32 s0, s8, s0
	s_addc_u32 s1, s9, s1
	v_mov_b32_e32 v0, s0
	v_mov_b32_e32 v1, s1
	;;#ASMSTART
	global_load_dwordx4 v[0:3], v[0:1] off glc dlc	
s_waitcnt vmcnt(0)
	;;#ASMEND
	v_and_b32_e32 v5, 0xff, v2
	v_cmpx_eq_u64_e32 0, v[5:6]
	s_cbranch_execz .LBB23_8
; %bb.3:
	v_mov_b32_e32 v8, s1
	v_mov_b32_e32 v7, s0
	s_mov_b32 s1, 1
	s_mov_b32 s0, 0
	.p2align	6
.LBB23_4:                               ; =>This Loop Header: Depth=1
                                        ;     Child Loop BB23_5 Depth 2
	s_mov_b32 s6, s1
.LBB23_5:                               ;   Parent Loop BB23_4 Depth=1
                                        ; =>  This Inner Loop Header: Depth=2
	s_add_i32 s6, s6, -1
	s_sleep 1
	s_cmp_eq_u32 s6, 0
	s_cbranch_scc0 .LBB23_5
; %bb.6:                                ;   in Loop: Header=BB23_4 Depth=1
	;;#ASMSTART
	global_load_dwordx4 v[0:3], v[7:8] off glc dlc	
s_waitcnt vmcnt(0)
	;;#ASMEND
	v_and_b32_e32 v5, 0xff, v2
	s_cmp_lt_u32 s1, 32
	s_cselect_b32 s6, -1, 0
	v_cmp_ne_u64_e32 vcc_lo, 0, v[5:6]
	s_cmp_lg_u32 s6, 0
	s_addc_u32 s1, s1, 0
	s_or_b32 s0, vcc_lo, s0
	s_andn2_b32 exec_lo, exec_lo, s0
	s_cbranch_execnz .LBB23_4
; %bb.7:
	s_or_b32 exec_lo, exec_lo, s0
.LBB23_8:
	s_or_b32 exec_lo, exec_lo, s3
	v_mov_b32_e32 v2, 0
	global_store_dword v2, v0, s[12:13]
	global_store_byte v2, v1, s[12:13] offset:4
.LBB23_9:
	s_or_b32 exec_lo, exec_lo, s2
.LBB23_10:
	s_mov_b32 s0, exec_lo
	v_cmpx_gt_u32_e64 s10, v4
	s_cbranch_execz .LBB23_12
; %bb.11:
	v_add_nc_u32_e32 v0, 32, v4
	v_mov_b32_e32 v1, 0
	v_lshlrev_b64 v[5:6], 4, v[0:1]
	v_mov_b32_e32 v0, v1
	v_mov_b32_e32 v2, v1
	;; [unrolled: 1-line block ×3, first 2 shown]
	v_add_co_u32 v5, vcc_lo, s8, v5
	v_add_co_ci_u32_e64 v6, null, s9, v6, vcc_lo
	global_store_dwordx4 v[5:6], v[0:3], off
.LBB23_12:
	s_or_b32 exec_lo, exec_lo, s0
	v_mov_b32_e32 v5, 0
	s_mov_b32 s0, exec_lo
	v_cmpx_gt_u32_e32 32, v4
	s_cbranch_execz .LBB23_14
; %bb.13:
	v_lshlrev_b64 v[6:7], 4, v[4:5]
	v_mov_b32_e32 v2, 0xff
	v_mov_b32_e32 v0, v5
	;; [unrolled: 1-line block ×4, first 2 shown]
	v_add_co_u32 v6, vcc_lo, s8, v6
	v_add_co_ci_u32_e64 v7, null, s9, v7, vcc_lo
	global_store_dwordx4 v[6:7], v[0:3], off
.LBB23_14:
	s_or_b32 exec_lo, exec_lo, s0
	s_load_dwordx2 s[2:3], s[4:5], 0x30
	s_mov_b32 s0, exec_lo
	s_waitcnt lgkmcnt(0)
	v_cmpx_gt_u64_e64 s[2:3], v[4:5]
	s_cbranch_execz .LBB23_21
; %bb.15:
	s_clause 0x1
	s_load_dwordx4 s[8:11], s[4:5], 0x20
	s_load_dword s6, s[4:5], 0x38
	s_mov_b32 s5, 0
	s_waitcnt lgkmcnt(0)
	v_cvt_f32_u32_e32 v0, s8
	v_cvt_f32_u32_e32 v1, s9
	;; [unrolled: 1-line block ×3, first 2 shown]
	s_add_i32 s0, s6, -1
	s_add_u32 s0, s0, s14
	v_fmamk_f32 v0, v1, 0x4f800000, v0
	v_rcp_iflag_f32_e32 v1, v2
	s_addc_u32 s1, 0, s15
	s_sub_i32 s4, 0, s8
	v_lshlrev_b64 v[2:3], 3, v[4:5]
	v_rcp_f32_e32 v0, v0
	v_add_co_u32 v2, vcc_lo, s10, v2
	v_mul_f32_e32 v1, 0x4f7ffffe, v1
	v_add_co_ci_u32_e64 v3, null, s11, v3, vcc_lo
	v_mul_f32_e32 v6, 0x5f7ffffc, v0
	v_cvt_u32_f32_e32 v1, v1
	v_mul_f32_e32 v0, 0x2f800000, v6
	v_mul_lo_u32 v7, s4, v1
	s_mul_i32 s4, s7, s16
	v_trunc_f32_e32 v8, v0
	v_mov_b32_e32 v0, 0
	s_mul_i32 s10, s6, s4
	v_mul_hi_u32 v9, v1, v7
	v_fmamk_f32 v10, v8, 0xcf800000, v6
	v_mad_u64_u32 v[6:7], null, s6, v4, s[0:1]
	v_cvt_u32_f32_e32 v11, v8
	s_mul_hi_u32 s1, s6, s4
	v_cvt_u32_f32_e32 v10, v10
	s_lshl_b64 s[6:7], s[4:5], 3
	v_add_nc_u32_e32 v12, v1, v9
	s_branch .LBB23_17
.LBB23_16:                              ;   in Loop: Header=BB23_17 Depth=1
	s_or_b32 exec_lo, exec_lo, s0
	v_add_co_u32 v4, vcc_lo, v4, s4
	v_add_co_ci_u32_e64 v5, null, 0, v5, vcc_lo
	v_add_co_u32 v6, vcc_lo, v6, s10
	v_add_co_ci_u32_e64 v7, null, s1, v7, vcc_lo
	v_cmp_le_u64_e32 vcc_lo, s[2:3], v[4:5]
	global_store_dwordx2 v[2:3], v[8:9], off
	v_add_co_u32 v2, s0, v2, s6
	v_add_co_ci_u32_e64 v3, null, s7, v3, s0
	s_or_b32 s5, vcc_lo, s5
	s_andn2_b32 exec_lo, exec_lo, s5
	s_cbranch_execz .LBB23_21
.LBB23_17:                              ; =>This Inner Loop Header: Depth=1
	v_or_b32_e32 v1, s9, v7
                                        ; implicit-def: $vgpr8_vgpr9
	s_mov_b32 s0, exec_lo
	v_cmpx_ne_u64_e32 0, v[0:1]
	s_xor_b32 s11, exec_lo, s0
	s_cbranch_execz .LBB23_19
; %bb.18:                               ;   in Loop: Header=BB23_17 Depth=1
	v_readfirstlane_b32 s0, v10
	v_readfirstlane_b32 s12, v11
	s_sub_u32 s13, 0, s8
	s_subb_u32 s14, 0, s9
	s_mul_hi_u32 s15, s13, s0
	s_mul_i32 s16, s13, s12
	s_mul_i32 s17, s14, s0
	s_add_i32 s15, s15, s16
	s_mul_i32 s16, s13, s0
	s_add_i32 s15, s15, s17
	s_mul_hi_u32 s17, s0, s16
	s_mul_i32 s18, s0, s15
	s_mul_hi_u32 s19, s0, s15
	s_add_u32 s17, s17, s18
	s_mul_i32 s20, s12, s16
	s_addc_u32 s18, 0, s19
	s_mul_hi_u32 s16, s12, s16
	s_mul_hi_u32 s19, s12, s15
	s_add_u32 s17, s17, s20
	s_addc_u32 s16, s18, s16
	s_mul_i32 s15, s12, s15
	s_addc_u32 s17, s19, 0
	s_add_u32 s15, s16, s15
	s_addc_u32 s16, 0, s17
	s_add_u32 s0, s0, s15
	s_cselect_b32 s15, -1, 0
	s_mul_i32 s14, s14, s0
	s_cmp_lg_u32 s15, 0
	s_addc_u32 s12, s12, s16
	s_mul_hi_u32 s16, s13, s0
	s_mul_i32 s15, s13, s12
	s_mul_i32 s13, s13, s0
	s_add_i32 s15, s16, s15
	s_mul_hi_u32 s16, s12, s13
	s_add_i32 s15, s15, s14
	s_mul_i32 s17, s12, s13
	s_mul_i32 s18, s0, s15
	s_mul_hi_u32 s13, s0, s13
	s_mul_hi_u32 s19, s0, s15
	s_add_u32 s13, s13, s18
	s_addc_u32 s18, 0, s19
	s_mul_hi_u32 s14, s12, s15
	s_add_u32 s13, s13, s17
	s_addc_u32 s13, s18, s16
	s_mul_i32 s15, s12, s15
	s_addc_u32 s14, s14, 0
	s_add_u32 s13, s13, s15
	s_addc_u32 s14, 0, s14
	s_add_u32 s0, s0, s13
	s_cselect_b32 s13, -1, 0
	v_mul_hi_u32 v1, v6, s0
	s_cmp_lg_u32 s13, 0
	v_mad_u64_u32 v[13:14], null, v7, s0, 0
	s_addc_u32 s12, s12, s14
	v_mad_u64_u32 v[8:9], null, v6, s12, 0
	v_add_co_u32 v1, vcc_lo, v1, v8
	v_add_co_ci_u32_e64 v15, null, 0, v9, vcc_lo
	v_mad_u64_u32 v[8:9], null, v7, s12, 0
	v_add_co_u32 v1, vcc_lo, v1, v13
	v_add_co_ci_u32_e32 v1, vcc_lo, v15, v14, vcc_lo
	v_add_co_ci_u32_e32 v9, vcc_lo, 0, v9, vcc_lo
	v_add_co_u32 v1, vcc_lo, v1, v8
	v_add_co_ci_u32_e64 v13, null, 0, v9, vcc_lo
	v_mul_lo_u32 v14, s9, v1
	v_mad_u64_u32 v[8:9], null, s8, v1, 0
	v_mul_lo_u32 v15, s8, v13
	v_sub_co_u32 v8, vcc_lo, v6, v8
	v_add3_u32 v9, v9, v15, v14
	v_add_co_u32 v15, s0, v1, 2
	v_add_co_ci_u32_e64 v16, null, 0, v13, s0
	v_sub_nc_u32_e32 v14, v7, v9
	v_sub_co_u32 v17, s0, v8, s8
	v_sub_co_ci_u32_e64 v9, null, v7, v9, vcc_lo
	v_subrev_co_ci_u32_e64 v14, null, s9, v14, vcc_lo
	v_cmp_le_u32_e32 vcc_lo, s8, v17
	v_subrev_co_ci_u32_e64 v14, null, 0, v14, s0
	v_cndmask_b32_e64 v17, 0, -1, vcc_lo
	v_cmp_eq_u32_e64 s0, s9, v9
	v_cmp_le_u32_e32 vcc_lo, s9, v14
	v_cndmask_b32_e64 v18, 0, -1, vcc_lo
	v_cmp_le_u32_e32 vcc_lo, s8, v8
	v_cndmask_b32_e64 v8, 0, -1, vcc_lo
	;; [unrolled: 2-line block ×3, first 2 shown]
	v_cmp_eq_u32_e32 vcc_lo, s9, v14
	v_cndmask_b32_e64 v8, v19, v8, s0
	v_cndmask_b32_e32 v14, v18, v17, vcc_lo
	v_add_co_u32 v17, vcc_lo, v1, 1
	v_add_co_ci_u32_e64 v18, null, 0, v13, vcc_lo
	v_cmp_ne_u32_e32 vcc_lo, 0, v14
	v_cndmask_b32_e32 v9, v18, v16, vcc_lo
	v_cndmask_b32_e32 v14, v17, v15, vcc_lo
	v_cmp_ne_u32_e32 vcc_lo, 0, v8
	v_cndmask_b32_e32 v9, v13, v9, vcc_lo
	v_cndmask_b32_e32 v8, v1, v14, vcc_lo
.LBB23_19:                              ;   in Loop: Header=BB23_17 Depth=1
	s_andn2_saveexec_b32 s0, s11
	s_cbranch_execz .LBB23_16
; %bb.20:                               ;   in Loop: Header=BB23_17 Depth=1
	v_mul_hi_u32 v1, v6, v12
	v_mul_lo_u32 v8, v1, s8
	v_add_nc_u32_e32 v9, 1, v1
	v_sub_nc_u32_e32 v8, v6, v8
	v_subrev_nc_u32_e32 v13, s8, v8
	v_cmp_le_u32_e32 vcc_lo, s8, v8
	v_cndmask_b32_e32 v8, v8, v13, vcc_lo
	v_cndmask_b32_e32 v1, v1, v9, vcc_lo
	v_cmp_le_u32_e32 vcc_lo, s8, v8
	v_add_nc_u32_e32 v9, 1, v1
	v_cndmask_b32_e32 v8, v1, v9, vcc_lo
	v_mov_b32_e32 v9, v0
	s_branch .LBB23_16
.LBB23_21:
	s_endpgm
	.section	.rodata,"a",@progbits
	.p2align	6, 0x0
	.amdhsa_kernel _ZN7rocprim17ROCPRIM_400000_NS6detail30init_device_scan_by_key_kernelINS1_19lookback_scan_stateINS0_5tupleIJibEEELb1ELb1EEEN6thrust23THRUST_200600_302600_NS18transform_iteratorI9row_indexNS8_17counting_iteratorImNS8_11use_defaultESC_SC_EESC_SC_EEjNS1_16block_id_wrapperIjLb0EEEEEvT_jjPNSH_10value_typeET0_PNSt15iterator_traitsISK_E10value_typeEmT1_T2_
		.amdhsa_group_segment_fixed_size 0
		.amdhsa_private_segment_fixed_size 0
		.amdhsa_kernarg_size 320
		.amdhsa_user_sgpr_count 6
		.amdhsa_user_sgpr_private_segment_buffer 1
		.amdhsa_user_sgpr_dispatch_ptr 0
		.amdhsa_user_sgpr_queue_ptr 0
		.amdhsa_user_sgpr_kernarg_segment_ptr 1
		.amdhsa_user_sgpr_dispatch_id 0
		.amdhsa_user_sgpr_flat_scratch_init 0
		.amdhsa_user_sgpr_private_segment_size 0
		.amdhsa_wavefront_size32 1
		.amdhsa_uses_dynamic_stack 0
		.amdhsa_system_sgpr_private_segment_wavefront_offset 0
		.amdhsa_system_sgpr_workgroup_id_x 1
		.amdhsa_system_sgpr_workgroup_id_y 0
		.amdhsa_system_sgpr_workgroup_id_z 0
		.amdhsa_system_sgpr_workgroup_info 0
		.amdhsa_system_vgpr_workitem_id 0
		.amdhsa_next_free_vgpr 20
		.amdhsa_next_free_sgpr 21
		.amdhsa_reserve_vcc 1
		.amdhsa_reserve_flat_scratch 0
		.amdhsa_float_round_mode_32 0
		.amdhsa_float_round_mode_16_64 0
		.amdhsa_float_denorm_mode_32 3
		.amdhsa_float_denorm_mode_16_64 3
		.amdhsa_dx10_clamp 1
		.amdhsa_ieee_mode 1
		.amdhsa_fp16_overflow 0
		.amdhsa_workgroup_processor_mode 1
		.amdhsa_memory_ordered 1
		.amdhsa_forward_progress 1
		.amdhsa_shared_vgpr_count 0
		.amdhsa_exception_fp_ieee_invalid_op 0
		.amdhsa_exception_fp_denorm_src 0
		.amdhsa_exception_fp_ieee_div_zero 0
		.amdhsa_exception_fp_ieee_overflow 0
		.amdhsa_exception_fp_ieee_underflow 0
		.amdhsa_exception_fp_ieee_inexact 0
		.amdhsa_exception_int_div_zero 0
	.end_amdhsa_kernel
	.section	.text._ZN7rocprim17ROCPRIM_400000_NS6detail30init_device_scan_by_key_kernelINS1_19lookback_scan_stateINS0_5tupleIJibEEELb1ELb1EEEN6thrust23THRUST_200600_302600_NS18transform_iteratorI9row_indexNS8_17counting_iteratorImNS8_11use_defaultESC_SC_EESC_SC_EEjNS1_16block_id_wrapperIjLb0EEEEEvT_jjPNSH_10value_typeET0_PNSt15iterator_traitsISK_E10value_typeEmT1_T2_,"axG",@progbits,_ZN7rocprim17ROCPRIM_400000_NS6detail30init_device_scan_by_key_kernelINS1_19lookback_scan_stateINS0_5tupleIJibEEELb1ELb1EEEN6thrust23THRUST_200600_302600_NS18transform_iteratorI9row_indexNS8_17counting_iteratorImNS8_11use_defaultESC_SC_EESC_SC_EEjNS1_16block_id_wrapperIjLb0EEEEEvT_jjPNSH_10value_typeET0_PNSt15iterator_traitsISK_E10value_typeEmT1_T2_,comdat
.Lfunc_end23:
	.size	_ZN7rocprim17ROCPRIM_400000_NS6detail30init_device_scan_by_key_kernelINS1_19lookback_scan_stateINS0_5tupleIJibEEELb1ELb1EEEN6thrust23THRUST_200600_302600_NS18transform_iteratorI9row_indexNS8_17counting_iteratorImNS8_11use_defaultESC_SC_EESC_SC_EEjNS1_16block_id_wrapperIjLb0EEEEEvT_jjPNSH_10value_typeET0_PNSt15iterator_traitsISK_E10value_typeEmT1_T2_, .Lfunc_end23-_ZN7rocprim17ROCPRIM_400000_NS6detail30init_device_scan_by_key_kernelINS1_19lookback_scan_stateINS0_5tupleIJibEEELb1ELb1EEEN6thrust23THRUST_200600_302600_NS18transform_iteratorI9row_indexNS8_17counting_iteratorImNS8_11use_defaultESC_SC_EESC_SC_EEjNS1_16block_id_wrapperIjLb0EEEEEvT_jjPNSH_10value_typeET0_PNSt15iterator_traitsISK_E10value_typeEmT1_T2_
                                        ; -- End function
	.set _ZN7rocprim17ROCPRIM_400000_NS6detail30init_device_scan_by_key_kernelINS1_19lookback_scan_stateINS0_5tupleIJibEEELb1ELb1EEEN6thrust23THRUST_200600_302600_NS18transform_iteratorI9row_indexNS8_17counting_iteratorImNS8_11use_defaultESC_SC_EESC_SC_EEjNS1_16block_id_wrapperIjLb0EEEEEvT_jjPNSH_10value_typeET0_PNSt15iterator_traitsISK_E10value_typeEmT1_T2_.num_vgpr, 20
	.set _ZN7rocprim17ROCPRIM_400000_NS6detail30init_device_scan_by_key_kernelINS1_19lookback_scan_stateINS0_5tupleIJibEEELb1ELb1EEEN6thrust23THRUST_200600_302600_NS18transform_iteratorI9row_indexNS8_17counting_iteratorImNS8_11use_defaultESC_SC_EESC_SC_EEjNS1_16block_id_wrapperIjLb0EEEEEvT_jjPNSH_10value_typeET0_PNSt15iterator_traitsISK_E10value_typeEmT1_T2_.num_agpr, 0
	.set _ZN7rocprim17ROCPRIM_400000_NS6detail30init_device_scan_by_key_kernelINS1_19lookback_scan_stateINS0_5tupleIJibEEELb1ELb1EEEN6thrust23THRUST_200600_302600_NS18transform_iteratorI9row_indexNS8_17counting_iteratorImNS8_11use_defaultESC_SC_EESC_SC_EEjNS1_16block_id_wrapperIjLb0EEEEEvT_jjPNSH_10value_typeET0_PNSt15iterator_traitsISK_E10value_typeEmT1_T2_.numbered_sgpr, 21
	.set _ZN7rocprim17ROCPRIM_400000_NS6detail30init_device_scan_by_key_kernelINS1_19lookback_scan_stateINS0_5tupleIJibEEELb1ELb1EEEN6thrust23THRUST_200600_302600_NS18transform_iteratorI9row_indexNS8_17counting_iteratorImNS8_11use_defaultESC_SC_EESC_SC_EEjNS1_16block_id_wrapperIjLb0EEEEEvT_jjPNSH_10value_typeET0_PNSt15iterator_traitsISK_E10value_typeEmT1_T2_.num_named_barrier, 0
	.set _ZN7rocprim17ROCPRIM_400000_NS6detail30init_device_scan_by_key_kernelINS1_19lookback_scan_stateINS0_5tupleIJibEEELb1ELb1EEEN6thrust23THRUST_200600_302600_NS18transform_iteratorI9row_indexNS8_17counting_iteratorImNS8_11use_defaultESC_SC_EESC_SC_EEjNS1_16block_id_wrapperIjLb0EEEEEvT_jjPNSH_10value_typeET0_PNSt15iterator_traitsISK_E10value_typeEmT1_T2_.private_seg_size, 0
	.set _ZN7rocprim17ROCPRIM_400000_NS6detail30init_device_scan_by_key_kernelINS1_19lookback_scan_stateINS0_5tupleIJibEEELb1ELb1EEEN6thrust23THRUST_200600_302600_NS18transform_iteratorI9row_indexNS8_17counting_iteratorImNS8_11use_defaultESC_SC_EESC_SC_EEjNS1_16block_id_wrapperIjLb0EEEEEvT_jjPNSH_10value_typeET0_PNSt15iterator_traitsISK_E10value_typeEmT1_T2_.uses_vcc, 1
	.set _ZN7rocprim17ROCPRIM_400000_NS6detail30init_device_scan_by_key_kernelINS1_19lookback_scan_stateINS0_5tupleIJibEEELb1ELb1EEEN6thrust23THRUST_200600_302600_NS18transform_iteratorI9row_indexNS8_17counting_iteratorImNS8_11use_defaultESC_SC_EESC_SC_EEjNS1_16block_id_wrapperIjLb0EEEEEvT_jjPNSH_10value_typeET0_PNSt15iterator_traitsISK_E10value_typeEmT1_T2_.uses_flat_scratch, 0
	.set _ZN7rocprim17ROCPRIM_400000_NS6detail30init_device_scan_by_key_kernelINS1_19lookback_scan_stateINS0_5tupleIJibEEELb1ELb1EEEN6thrust23THRUST_200600_302600_NS18transform_iteratorI9row_indexNS8_17counting_iteratorImNS8_11use_defaultESC_SC_EESC_SC_EEjNS1_16block_id_wrapperIjLb0EEEEEvT_jjPNSH_10value_typeET0_PNSt15iterator_traitsISK_E10value_typeEmT1_T2_.has_dyn_sized_stack, 0
	.set _ZN7rocprim17ROCPRIM_400000_NS6detail30init_device_scan_by_key_kernelINS1_19lookback_scan_stateINS0_5tupleIJibEEELb1ELb1EEEN6thrust23THRUST_200600_302600_NS18transform_iteratorI9row_indexNS8_17counting_iteratorImNS8_11use_defaultESC_SC_EESC_SC_EEjNS1_16block_id_wrapperIjLb0EEEEEvT_jjPNSH_10value_typeET0_PNSt15iterator_traitsISK_E10value_typeEmT1_T2_.has_recursion, 0
	.set _ZN7rocprim17ROCPRIM_400000_NS6detail30init_device_scan_by_key_kernelINS1_19lookback_scan_stateINS0_5tupleIJibEEELb1ELb1EEEN6thrust23THRUST_200600_302600_NS18transform_iteratorI9row_indexNS8_17counting_iteratorImNS8_11use_defaultESC_SC_EESC_SC_EEjNS1_16block_id_wrapperIjLb0EEEEEvT_jjPNSH_10value_typeET0_PNSt15iterator_traitsISK_E10value_typeEmT1_T2_.has_indirect_call, 0
	.section	.AMDGPU.csdata,"",@progbits
; Kernel info:
; codeLenInByte = 1352
; TotalNumSgprs: 23
; NumVgprs: 20
; ScratchSize: 0
; MemoryBound: 0
; FloatMode: 240
; IeeeMode: 1
; LDSByteSize: 0 bytes/workgroup (compile time only)
; SGPRBlocks: 0
; VGPRBlocks: 2
; NumSGPRsForWavesPerEU: 23
; NumVGPRsForWavesPerEU: 20
; Occupancy: 16
; WaveLimiterHint : 0
; COMPUTE_PGM_RSRC2:SCRATCH_EN: 0
; COMPUTE_PGM_RSRC2:USER_SGPR: 6
; COMPUTE_PGM_RSRC2:TRAP_HANDLER: 0
; COMPUTE_PGM_RSRC2:TGID_X_EN: 1
; COMPUTE_PGM_RSRC2:TGID_Y_EN: 0
; COMPUTE_PGM_RSRC2:TGID_Z_EN: 0
; COMPUTE_PGM_RSRC2:TIDIG_COMP_CNT: 0
	.section	.text._ZN7rocprim17ROCPRIM_400000_NS6detail30init_device_scan_by_key_kernelINS1_19lookback_scan_stateINS0_5tupleIJibEEELb1ELb1EEENS1_16block_id_wrapperIjLb0EEEEEvT_jjPNS9_10value_typeET0_,"axG",@progbits,_ZN7rocprim17ROCPRIM_400000_NS6detail30init_device_scan_by_key_kernelINS1_19lookback_scan_stateINS0_5tupleIJibEEELb1ELb1EEENS1_16block_id_wrapperIjLb0EEEEEvT_jjPNS9_10value_typeET0_,comdat
	.protected	_ZN7rocprim17ROCPRIM_400000_NS6detail30init_device_scan_by_key_kernelINS1_19lookback_scan_stateINS0_5tupleIJibEEELb1ELb1EEENS1_16block_id_wrapperIjLb0EEEEEvT_jjPNS9_10value_typeET0_ ; -- Begin function _ZN7rocprim17ROCPRIM_400000_NS6detail30init_device_scan_by_key_kernelINS1_19lookback_scan_stateINS0_5tupleIJibEEELb1ELb1EEENS1_16block_id_wrapperIjLb0EEEEEvT_jjPNS9_10value_typeET0_
	.globl	_ZN7rocprim17ROCPRIM_400000_NS6detail30init_device_scan_by_key_kernelINS1_19lookback_scan_stateINS0_5tupleIJibEEELb1ELb1EEENS1_16block_id_wrapperIjLb0EEEEEvT_jjPNS9_10value_typeET0_
	.p2align	8
	.type	_ZN7rocprim17ROCPRIM_400000_NS6detail30init_device_scan_by_key_kernelINS1_19lookback_scan_stateINS0_5tupleIJibEEELb1ELb1EEENS1_16block_id_wrapperIjLb0EEEEEvT_jjPNS9_10value_typeET0_,@function
_ZN7rocprim17ROCPRIM_400000_NS6detail30init_device_scan_by_key_kernelINS1_19lookback_scan_stateINS0_5tupleIJibEEELb1ELb1EEENS1_16block_id_wrapperIjLb0EEEEEvT_jjPNS9_10value_typeET0_: ; @_ZN7rocprim17ROCPRIM_400000_NS6detail30init_device_scan_by_key_kernelINS1_19lookback_scan_stateINS0_5tupleIJibEEELb1ELb1EEENS1_16block_id_wrapperIjLb0EEEEEvT_jjPNS9_10value_typeET0_
; %bb.0:
	s_clause 0x2
	s_load_dword s7, s[4:5], 0x2c
	s_load_dwordx2 s[8:9], s[4:5], 0x10
	s_load_dwordx4 s[0:3], s[4:5], 0x0
	s_waitcnt lgkmcnt(0)
	s_and_b32 s4, s7, 0xffff
	s_cmp_eq_u64 s[8:9], 0
	v_mad_u64_u32 v[0:1], null, s6, s4, v[0:1]
	s_cbranch_scc1 .LBB24_10
; %bb.1:
	s_cmp_lt_u32 s3, s2
	s_mov_b32 s5, 0
	s_cselect_b32 s4, s3, 0
	s_mov_b32 s6, exec_lo
	v_cmpx_eq_u32_e64 s4, v0
	s_cbranch_execz .LBB24_9
; %bb.2:
	s_add_i32 s4, s3, 32
	v_mov_b32_e32 v5, 0
	s_lshl_b64 s[4:5], s[4:5], 4
	s_mov_b32 s3, exec_lo
	s_add_u32 s4, s0, s4
	s_addc_u32 s5, s1, s5
	v_mov_b32_e32 v1, s4
	v_mov_b32_e32 v2, s5
	;;#ASMSTART
	global_load_dwordx4 v[1:4], v[1:2] off glc dlc	
s_waitcnt vmcnt(0)
	;;#ASMEND
	v_and_b32_e32 v4, 0xff, v3
	v_cmpx_eq_u64_e32 0, v[4:5]
	s_cbranch_execz .LBB24_8
; %bb.3:
	v_mov_b32_e32 v7, s5
	v_mov_b32_e32 v6, s4
	s_mov_b32 s5, 1
	s_mov_b32 s4, 0
	.p2align	6
.LBB24_4:                               ; =>This Loop Header: Depth=1
                                        ;     Child Loop BB24_5 Depth 2
	s_mov_b32 s7, s5
.LBB24_5:                               ;   Parent Loop BB24_4 Depth=1
                                        ; =>  This Inner Loop Header: Depth=2
	s_add_i32 s7, s7, -1
	s_sleep 1
	s_cmp_eq_u32 s7, 0
	s_cbranch_scc0 .LBB24_5
; %bb.6:                                ;   in Loop: Header=BB24_4 Depth=1
	;;#ASMSTART
	global_load_dwordx4 v[1:4], v[6:7] off glc dlc	
s_waitcnt vmcnt(0)
	;;#ASMEND
	v_and_b32_e32 v4, 0xff, v3
	s_cmp_lt_u32 s5, 32
	s_cselect_b32 s7, -1, 0
	s_cmp_lg_u32 s7, 0
	v_cmp_ne_u64_e32 vcc_lo, 0, v[4:5]
	s_addc_u32 s5, s5, 0
	s_or_b32 s4, vcc_lo, s4
	s_andn2_b32 exec_lo, exec_lo, s4
	s_cbranch_execnz .LBB24_4
; %bb.7:
	s_or_b32 exec_lo, exec_lo, s4
.LBB24_8:
	s_or_b32 exec_lo, exec_lo, s3
	v_mov_b32_e32 v3, 0
	global_store_dword v3, v1, s[8:9]
	global_store_byte v3, v2, s[8:9] offset:4
.LBB24_9:
	s_or_b32 exec_lo, exec_lo, s6
.LBB24_10:
	v_cmp_gt_u32_e32 vcc_lo, s2, v0
	s_and_saveexec_b32 s2, vcc_lo
	s_cbranch_execz .LBB24_12
; %bb.11:
	v_add_nc_u32_e32 v1, 32, v0
	v_mov_b32_e32 v2, 0
	v_lshlrev_b64 v[4:5], 4, v[1:2]
	v_mov_b32_e32 v1, v2
	v_mov_b32_e32 v3, v2
	v_add_co_u32 v6, vcc_lo, s0, v4
	v_add_co_ci_u32_e64 v7, null, s1, v5, vcc_lo
	v_mov_b32_e32 v4, v2
	global_store_dwordx4 v[6:7], v[1:4], off
.LBB24_12:
	s_or_b32 exec_lo, exec_lo, s2
	s_mov_b32 s2, exec_lo
	v_cmpx_gt_u32_e32 32, v0
	s_cbranch_execz .LBB24_14
; %bb.13:
	v_mov_b32_e32 v1, 0
	v_mov_b32_e32 v2, 0xff
	v_lshlrev_b64 v[3:4], 4, v[0:1]
	v_mov_b32_e32 v0, v1
	v_add_co_u32 v5, vcc_lo, s0, v3
	v_add_co_ci_u32_e64 v6, null, s1, v4, vcc_lo
	v_mov_b32_e32 v3, v1
	global_store_dwordx4 v[5:6], v[0:3], off
.LBB24_14:
	s_endpgm
	.section	.rodata,"a",@progbits
	.p2align	6, 0x0
	.amdhsa_kernel _ZN7rocprim17ROCPRIM_400000_NS6detail30init_device_scan_by_key_kernelINS1_19lookback_scan_stateINS0_5tupleIJibEEELb1ELb1EEENS1_16block_id_wrapperIjLb0EEEEEvT_jjPNS9_10value_typeET0_
		.amdhsa_group_segment_fixed_size 0
		.amdhsa_private_segment_fixed_size 0
		.amdhsa_kernarg_size 288
		.amdhsa_user_sgpr_count 6
		.amdhsa_user_sgpr_private_segment_buffer 1
		.amdhsa_user_sgpr_dispatch_ptr 0
		.amdhsa_user_sgpr_queue_ptr 0
		.amdhsa_user_sgpr_kernarg_segment_ptr 1
		.amdhsa_user_sgpr_dispatch_id 0
		.amdhsa_user_sgpr_flat_scratch_init 0
		.amdhsa_user_sgpr_private_segment_size 0
		.amdhsa_wavefront_size32 1
		.amdhsa_uses_dynamic_stack 0
		.amdhsa_system_sgpr_private_segment_wavefront_offset 0
		.amdhsa_system_sgpr_workgroup_id_x 1
		.amdhsa_system_sgpr_workgroup_id_y 0
		.amdhsa_system_sgpr_workgroup_id_z 0
		.amdhsa_system_sgpr_workgroup_info 0
		.amdhsa_system_vgpr_workitem_id 0
		.amdhsa_next_free_vgpr 8
		.amdhsa_next_free_sgpr 10
		.amdhsa_reserve_vcc 1
		.amdhsa_reserve_flat_scratch 0
		.amdhsa_float_round_mode_32 0
		.amdhsa_float_round_mode_16_64 0
		.amdhsa_float_denorm_mode_32 3
		.amdhsa_float_denorm_mode_16_64 3
		.amdhsa_dx10_clamp 1
		.amdhsa_ieee_mode 1
		.amdhsa_fp16_overflow 0
		.amdhsa_workgroup_processor_mode 1
		.amdhsa_memory_ordered 1
		.amdhsa_forward_progress 1
		.amdhsa_shared_vgpr_count 0
		.amdhsa_exception_fp_ieee_invalid_op 0
		.amdhsa_exception_fp_denorm_src 0
		.amdhsa_exception_fp_ieee_div_zero 0
		.amdhsa_exception_fp_ieee_overflow 0
		.amdhsa_exception_fp_ieee_underflow 0
		.amdhsa_exception_fp_ieee_inexact 0
		.amdhsa_exception_int_div_zero 0
	.end_amdhsa_kernel
	.section	.text._ZN7rocprim17ROCPRIM_400000_NS6detail30init_device_scan_by_key_kernelINS1_19lookback_scan_stateINS0_5tupleIJibEEELb1ELb1EEENS1_16block_id_wrapperIjLb0EEEEEvT_jjPNS9_10value_typeET0_,"axG",@progbits,_ZN7rocprim17ROCPRIM_400000_NS6detail30init_device_scan_by_key_kernelINS1_19lookback_scan_stateINS0_5tupleIJibEEELb1ELb1EEENS1_16block_id_wrapperIjLb0EEEEEvT_jjPNS9_10value_typeET0_,comdat
.Lfunc_end24:
	.size	_ZN7rocprim17ROCPRIM_400000_NS6detail30init_device_scan_by_key_kernelINS1_19lookback_scan_stateINS0_5tupleIJibEEELb1ELb1EEENS1_16block_id_wrapperIjLb0EEEEEvT_jjPNS9_10value_typeET0_, .Lfunc_end24-_ZN7rocprim17ROCPRIM_400000_NS6detail30init_device_scan_by_key_kernelINS1_19lookback_scan_stateINS0_5tupleIJibEEELb1ELb1EEENS1_16block_id_wrapperIjLb0EEEEEvT_jjPNS9_10value_typeET0_
                                        ; -- End function
	.set _ZN7rocprim17ROCPRIM_400000_NS6detail30init_device_scan_by_key_kernelINS1_19lookback_scan_stateINS0_5tupleIJibEEELb1ELb1EEENS1_16block_id_wrapperIjLb0EEEEEvT_jjPNS9_10value_typeET0_.num_vgpr, 8
	.set _ZN7rocprim17ROCPRIM_400000_NS6detail30init_device_scan_by_key_kernelINS1_19lookback_scan_stateINS0_5tupleIJibEEELb1ELb1EEENS1_16block_id_wrapperIjLb0EEEEEvT_jjPNS9_10value_typeET0_.num_agpr, 0
	.set _ZN7rocprim17ROCPRIM_400000_NS6detail30init_device_scan_by_key_kernelINS1_19lookback_scan_stateINS0_5tupleIJibEEELb1ELb1EEENS1_16block_id_wrapperIjLb0EEEEEvT_jjPNS9_10value_typeET0_.numbered_sgpr, 10
	.set _ZN7rocprim17ROCPRIM_400000_NS6detail30init_device_scan_by_key_kernelINS1_19lookback_scan_stateINS0_5tupleIJibEEELb1ELb1EEENS1_16block_id_wrapperIjLb0EEEEEvT_jjPNS9_10value_typeET0_.num_named_barrier, 0
	.set _ZN7rocprim17ROCPRIM_400000_NS6detail30init_device_scan_by_key_kernelINS1_19lookback_scan_stateINS0_5tupleIJibEEELb1ELb1EEENS1_16block_id_wrapperIjLb0EEEEEvT_jjPNS9_10value_typeET0_.private_seg_size, 0
	.set _ZN7rocprim17ROCPRIM_400000_NS6detail30init_device_scan_by_key_kernelINS1_19lookback_scan_stateINS0_5tupleIJibEEELb1ELb1EEENS1_16block_id_wrapperIjLb0EEEEEvT_jjPNS9_10value_typeET0_.uses_vcc, 1
	.set _ZN7rocprim17ROCPRIM_400000_NS6detail30init_device_scan_by_key_kernelINS1_19lookback_scan_stateINS0_5tupleIJibEEELb1ELb1EEENS1_16block_id_wrapperIjLb0EEEEEvT_jjPNS9_10value_typeET0_.uses_flat_scratch, 0
	.set _ZN7rocprim17ROCPRIM_400000_NS6detail30init_device_scan_by_key_kernelINS1_19lookback_scan_stateINS0_5tupleIJibEEELb1ELb1EEENS1_16block_id_wrapperIjLb0EEEEEvT_jjPNS9_10value_typeET0_.has_dyn_sized_stack, 0
	.set _ZN7rocprim17ROCPRIM_400000_NS6detail30init_device_scan_by_key_kernelINS1_19lookback_scan_stateINS0_5tupleIJibEEELb1ELb1EEENS1_16block_id_wrapperIjLb0EEEEEvT_jjPNS9_10value_typeET0_.has_recursion, 0
	.set _ZN7rocprim17ROCPRIM_400000_NS6detail30init_device_scan_by_key_kernelINS1_19lookback_scan_stateINS0_5tupleIJibEEELb1ELb1EEENS1_16block_id_wrapperIjLb0EEEEEvT_jjPNS9_10value_typeET0_.has_indirect_call, 0
	.section	.AMDGPU.csdata,"",@progbits
; Kernel info:
; codeLenInByte = 460
; TotalNumSgprs: 12
; NumVgprs: 8
; ScratchSize: 0
; MemoryBound: 0
; FloatMode: 240
; IeeeMode: 1
; LDSByteSize: 0 bytes/workgroup (compile time only)
; SGPRBlocks: 0
; VGPRBlocks: 0
; NumSGPRsForWavesPerEU: 12
; NumVGPRsForWavesPerEU: 8
; Occupancy: 16
; WaveLimiterHint : 0
; COMPUTE_PGM_RSRC2:SCRATCH_EN: 0
; COMPUTE_PGM_RSRC2:USER_SGPR: 6
; COMPUTE_PGM_RSRC2:TRAP_HANDLER: 0
; COMPUTE_PGM_RSRC2:TGID_X_EN: 1
; COMPUTE_PGM_RSRC2:TGID_Y_EN: 0
; COMPUTE_PGM_RSRC2:TGID_Z_EN: 0
; COMPUTE_PGM_RSRC2:TIDIG_COMP_CNT: 0
	.section	.text._ZN7rocprim17ROCPRIM_400000_NS6detail17trampoline_kernelINS0_14default_configENS1_27scan_by_key_config_selectorImiEEZZNS1_16scan_by_key_implILNS1_25lookback_scan_determinismE0ELb0ES3_N6thrust23THRUST_200600_302600_NS18transform_iteratorI9row_indexNS9_17counting_iteratorImNS9_11use_defaultESD_SD_EESD_SD_EENS9_6detail15normal_iteratorINS9_10device_ptrIiEEEESK_iNS9_4plusIvEENS9_8equal_toIvEEiEE10hipError_tPvRmT2_T3_T4_T5_mT6_T7_P12ihipStream_tbENKUlT_T0_E_clISt17integral_constantIbLb1EES14_IbLb0EEEEDaS10_S11_EUlS10_E_NS1_11comp_targetILNS1_3genE0ELNS1_11target_archE4294967295ELNS1_3gpuE0ELNS1_3repE0EEENS1_30default_config_static_selectorELNS0_4arch9wavefront6targetE0EEEvT1_,"axG",@progbits,_ZN7rocprim17ROCPRIM_400000_NS6detail17trampoline_kernelINS0_14default_configENS1_27scan_by_key_config_selectorImiEEZZNS1_16scan_by_key_implILNS1_25lookback_scan_determinismE0ELb0ES3_N6thrust23THRUST_200600_302600_NS18transform_iteratorI9row_indexNS9_17counting_iteratorImNS9_11use_defaultESD_SD_EESD_SD_EENS9_6detail15normal_iteratorINS9_10device_ptrIiEEEESK_iNS9_4plusIvEENS9_8equal_toIvEEiEE10hipError_tPvRmT2_T3_T4_T5_mT6_T7_P12ihipStream_tbENKUlT_T0_E_clISt17integral_constantIbLb1EES14_IbLb0EEEEDaS10_S11_EUlS10_E_NS1_11comp_targetILNS1_3genE0ELNS1_11target_archE4294967295ELNS1_3gpuE0ELNS1_3repE0EEENS1_30default_config_static_selectorELNS0_4arch9wavefront6targetE0EEEvT1_,comdat
	.protected	_ZN7rocprim17ROCPRIM_400000_NS6detail17trampoline_kernelINS0_14default_configENS1_27scan_by_key_config_selectorImiEEZZNS1_16scan_by_key_implILNS1_25lookback_scan_determinismE0ELb0ES3_N6thrust23THRUST_200600_302600_NS18transform_iteratorI9row_indexNS9_17counting_iteratorImNS9_11use_defaultESD_SD_EESD_SD_EENS9_6detail15normal_iteratorINS9_10device_ptrIiEEEESK_iNS9_4plusIvEENS9_8equal_toIvEEiEE10hipError_tPvRmT2_T3_T4_T5_mT6_T7_P12ihipStream_tbENKUlT_T0_E_clISt17integral_constantIbLb1EES14_IbLb0EEEEDaS10_S11_EUlS10_E_NS1_11comp_targetILNS1_3genE0ELNS1_11target_archE4294967295ELNS1_3gpuE0ELNS1_3repE0EEENS1_30default_config_static_selectorELNS0_4arch9wavefront6targetE0EEEvT1_ ; -- Begin function _ZN7rocprim17ROCPRIM_400000_NS6detail17trampoline_kernelINS0_14default_configENS1_27scan_by_key_config_selectorImiEEZZNS1_16scan_by_key_implILNS1_25lookback_scan_determinismE0ELb0ES3_N6thrust23THRUST_200600_302600_NS18transform_iteratorI9row_indexNS9_17counting_iteratorImNS9_11use_defaultESD_SD_EESD_SD_EENS9_6detail15normal_iteratorINS9_10device_ptrIiEEEESK_iNS9_4plusIvEENS9_8equal_toIvEEiEE10hipError_tPvRmT2_T3_T4_T5_mT6_T7_P12ihipStream_tbENKUlT_T0_E_clISt17integral_constantIbLb1EES14_IbLb0EEEEDaS10_S11_EUlS10_E_NS1_11comp_targetILNS1_3genE0ELNS1_11target_archE4294967295ELNS1_3gpuE0ELNS1_3repE0EEENS1_30default_config_static_selectorELNS0_4arch9wavefront6targetE0EEEvT1_
	.globl	_ZN7rocprim17ROCPRIM_400000_NS6detail17trampoline_kernelINS0_14default_configENS1_27scan_by_key_config_selectorImiEEZZNS1_16scan_by_key_implILNS1_25lookback_scan_determinismE0ELb0ES3_N6thrust23THRUST_200600_302600_NS18transform_iteratorI9row_indexNS9_17counting_iteratorImNS9_11use_defaultESD_SD_EESD_SD_EENS9_6detail15normal_iteratorINS9_10device_ptrIiEEEESK_iNS9_4plusIvEENS9_8equal_toIvEEiEE10hipError_tPvRmT2_T3_T4_T5_mT6_T7_P12ihipStream_tbENKUlT_T0_E_clISt17integral_constantIbLb1EES14_IbLb0EEEEDaS10_S11_EUlS10_E_NS1_11comp_targetILNS1_3genE0ELNS1_11target_archE4294967295ELNS1_3gpuE0ELNS1_3repE0EEENS1_30default_config_static_selectorELNS0_4arch9wavefront6targetE0EEEvT1_
	.p2align	8
	.type	_ZN7rocprim17ROCPRIM_400000_NS6detail17trampoline_kernelINS0_14default_configENS1_27scan_by_key_config_selectorImiEEZZNS1_16scan_by_key_implILNS1_25lookback_scan_determinismE0ELb0ES3_N6thrust23THRUST_200600_302600_NS18transform_iteratorI9row_indexNS9_17counting_iteratorImNS9_11use_defaultESD_SD_EESD_SD_EENS9_6detail15normal_iteratorINS9_10device_ptrIiEEEESK_iNS9_4plusIvEENS9_8equal_toIvEEiEE10hipError_tPvRmT2_T3_T4_T5_mT6_T7_P12ihipStream_tbENKUlT_T0_E_clISt17integral_constantIbLb1EES14_IbLb0EEEEDaS10_S11_EUlS10_E_NS1_11comp_targetILNS1_3genE0ELNS1_11target_archE4294967295ELNS1_3gpuE0ELNS1_3repE0EEENS1_30default_config_static_selectorELNS0_4arch9wavefront6targetE0EEEvT1_,@function
_ZN7rocprim17ROCPRIM_400000_NS6detail17trampoline_kernelINS0_14default_configENS1_27scan_by_key_config_selectorImiEEZZNS1_16scan_by_key_implILNS1_25lookback_scan_determinismE0ELb0ES3_N6thrust23THRUST_200600_302600_NS18transform_iteratorI9row_indexNS9_17counting_iteratorImNS9_11use_defaultESD_SD_EESD_SD_EENS9_6detail15normal_iteratorINS9_10device_ptrIiEEEESK_iNS9_4plusIvEENS9_8equal_toIvEEiEE10hipError_tPvRmT2_T3_T4_T5_mT6_T7_P12ihipStream_tbENKUlT_T0_E_clISt17integral_constantIbLb1EES14_IbLb0EEEEDaS10_S11_EUlS10_E_NS1_11comp_targetILNS1_3genE0ELNS1_11target_archE4294967295ELNS1_3gpuE0ELNS1_3repE0EEENS1_30default_config_static_selectorELNS0_4arch9wavefront6targetE0EEEvT1_: ; @_ZN7rocprim17ROCPRIM_400000_NS6detail17trampoline_kernelINS0_14default_configENS1_27scan_by_key_config_selectorImiEEZZNS1_16scan_by_key_implILNS1_25lookback_scan_determinismE0ELb0ES3_N6thrust23THRUST_200600_302600_NS18transform_iteratorI9row_indexNS9_17counting_iteratorImNS9_11use_defaultESD_SD_EESD_SD_EENS9_6detail15normal_iteratorINS9_10device_ptrIiEEEESK_iNS9_4plusIvEENS9_8equal_toIvEEiEE10hipError_tPvRmT2_T3_T4_T5_mT6_T7_P12ihipStream_tbENKUlT_T0_E_clISt17integral_constantIbLb1EES14_IbLb0EEEEDaS10_S11_EUlS10_E_NS1_11comp_targetILNS1_3genE0ELNS1_11target_archE4294967295ELNS1_3gpuE0ELNS1_3repE0EEENS1_30default_config_static_selectorELNS0_4arch9wavefront6targetE0EEEvT1_
; %bb.0:
	.section	.rodata,"a",@progbits
	.p2align	6, 0x0
	.amdhsa_kernel _ZN7rocprim17ROCPRIM_400000_NS6detail17trampoline_kernelINS0_14default_configENS1_27scan_by_key_config_selectorImiEEZZNS1_16scan_by_key_implILNS1_25lookback_scan_determinismE0ELb0ES3_N6thrust23THRUST_200600_302600_NS18transform_iteratorI9row_indexNS9_17counting_iteratorImNS9_11use_defaultESD_SD_EESD_SD_EENS9_6detail15normal_iteratorINS9_10device_ptrIiEEEESK_iNS9_4plusIvEENS9_8equal_toIvEEiEE10hipError_tPvRmT2_T3_T4_T5_mT6_T7_P12ihipStream_tbENKUlT_T0_E_clISt17integral_constantIbLb1EES14_IbLb0EEEEDaS10_S11_EUlS10_E_NS1_11comp_targetILNS1_3genE0ELNS1_11target_archE4294967295ELNS1_3gpuE0ELNS1_3repE0EEENS1_30default_config_static_selectorELNS0_4arch9wavefront6targetE0EEEvT1_
		.amdhsa_group_segment_fixed_size 0
		.amdhsa_private_segment_fixed_size 0
		.amdhsa_kernarg_size 120
		.amdhsa_user_sgpr_count 6
		.amdhsa_user_sgpr_private_segment_buffer 1
		.amdhsa_user_sgpr_dispatch_ptr 0
		.amdhsa_user_sgpr_queue_ptr 0
		.amdhsa_user_sgpr_kernarg_segment_ptr 1
		.amdhsa_user_sgpr_dispatch_id 0
		.amdhsa_user_sgpr_flat_scratch_init 0
		.amdhsa_user_sgpr_private_segment_size 0
		.amdhsa_wavefront_size32 1
		.amdhsa_uses_dynamic_stack 0
		.amdhsa_system_sgpr_private_segment_wavefront_offset 0
		.amdhsa_system_sgpr_workgroup_id_x 1
		.amdhsa_system_sgpr_workgroup_id_y 0
		.amdhsa_system_sgpr_workgroup_id_z 0
		.amdhsa_system_sgpr_workgroup_info 0
		.amdhsa_system_vgpr_workitem_id 0
		.amdhsa_next_free_vgpr 1
		.amdhsa_next_free_sgpr 1
		.amdhsa_reserve_vcc 0
		.amdhsa_reserve_flat_scratch 0
		.amdhsa_float_round_mode_32 0
		.amdhsa_float_round_mode_16_64 0
		.amdhsa_float_denorm_mode_32 3
		.amdhsa_float_denorm_mode_16_64 3
		.amdhsa_dx10_clamp 1
		.amdhsa_ieee_mode 1
		.amdhsa_fp16_overflow 0
		.amdhsa_workgroup_processor_mode 1
		.amdhsa_memory_ordered 1
		.amdhsa_forward_progress 1
		.amdhsa_shared_vgpr_count 0
		.amdhsa_exception_fp_ieee_invalid_op 0
		.amdhsa_exception_fp_denorm_src 0
		.amdhsa_exception_fp_ieee_div_zero 0
		.amdhsa_exception_fp_ieee_overflow 0
		.amdhsa_exception_fp_ieee_underflow 0
		.amdhsa_exception_fp_ieee_inexact 0
		.amdhsa_exception_int_div_zero 0
	.end_amdhsa_kernel
	.section	.text._ZN7rocprim17ROCPRIM_400000_NS6detail17trampoline_kernelINS0_14default_configENS1_27scan_by_key_config_selectorImiEEZZNS1_16scan_by_key_implILNS1_25lookback_scan_determinismE0ELb0ES3_N6thrust23THRUST_200600_302600_NS18transform_iteratorI9row_indexNS9_17counting_iteratorImNS9_11use_defaultESD_SD_EESD_SD_EENS9_6detail15normal_iteratorINS9_10device_ptrIiEEEESK_iNS9_4plusIvEENS9_8equal_toIvEEiEE10hipError_tPvRmT2_T3_T4_T5_mT6_T7_P12ihipStream_tbENKUlT_T0_E_clISt17integral_constantIbLb1EES14_IbLb0EEEEDaS10_S11_EUlS10_E_NS1_11comp_targetILNS1_3genE0ELNS1_11target_archE4294967295ELNS1_3gpuE0ELNS1_3repE0EEENS1_30default_config_static_selectorELNS0_4arch9wavefront6targetE0EEEvT1_,"axG",@progbits,_ZN7rocprim17ROCPRIM_400000_NS6detail17trampoline_kernelINS0_14default_configENS1_27scan_by_key_config_selectorImiEEZZNS1_16scan_by_key_implILNS1_25lookback_scan_determinismE0ELb0ES3_N6thrust23THRUST_200600_302600_NS18transform_iteratorI9row_indexNS9_17counting_iteratorImNS9_11use_defaultESD_SD_EESD_SD_EENS9_6detail15normal_iteratorINS9_10device_ptrIiEEEESK_iNS9_4plusIvEENS9_8equal_toIvEEiEE10hipError_tPvRmT2_T3_T4_T5_mT6_T7_P12ihipStream_tbENKUlT_T0_E_clISt17integral_constantIbLb1EES14_IbLb0EEEEDaS10_S11_EUlS10_E_NS1_11comp_targetILNS1_3genE0ELNS1_11target_archE4294967295ELNS1_3gpuE0ELNS1_3repE0EEENS1_30default_config_static_selectorELNS0_4arch9wavefront6targetE0EEEvT1_,comdat
.Lfunc_end25:
	.size	_ZN7rocprim17ROCPRIM_400000_NS6detail17trampoline_kernelINS0_14default_configENS1_27scan_by_key_config_selectorImiEEZZNS1_16scan_by_key_implILNS1_25lookback_scan_determinismE0ELb0ES3_N6thrust23THRUST_200600_302600_NS18transform_iteratorI9row_indexNS9_17counting_iteratorImNS9_11use_defaultESD_SD_EESD_SD_EENS9_6detail15normal_iteratorINS9_10device_ptrIiEEEESK_iNS9_4plusIvEENS9_8equal_toIvEEiEE10hipError_tPvRmT2_T3_T4_T5_mT6_T7_P12ihipStream_tbENKUlT_T0_E_clISt17integral_constantIbLb1EES14_IbLb0EEEEDaS10_S11_EUlS10_E_NS1_11comp_targetILNS1_3genE0ELNS1_11target_archE4294967295ELNS1_3gpuE0ELNS1_3repE0EEENS1_30default_config_static_selectorELNS0_4arch9wavefront6targetE0EEEvT1_, .Lfunc_end25-_ZN7rocprim17ROCPRIM_400000_NS6detail17trampoline_kernelINS0_14default_configENS1_27scan_by_key_config_selectorImiEEZZNS1_16scan_by_key_implILNS1_25lookback_scan_determinismE0ELb0ES3_N6thrust23THRUST_200600_302600_NS18transform_iteratorI9row_indexNS9_17counting_iteratorImNS9_11use_defaultESD_SD_EESD_SD_EENS9_6detail15normal_iteratorINS9_10device_ptrIiEEEESK_iNS9_4plusIvEENS9_8equal_toIvEEiEE10hipError_tPvRmT2_T3_T4_T5_mT6_T7_P12ihipStream_tbENKUlT_T0_E_clISt17integral_constantIbLb1EES14_IbLb0EEEEDaS10_S11_EUlS10_E_NS1_11comp_targetILNS1_3genE0ELNS1_11target_archE4294967295ELNS1_3gpuE0ELNS1_3repE0EEENS1_30default_config_static_selectorELNS0_4arch9wavefront6targetE0EEEvT1_
                                        ; -- End function
	.set _ZN7rocprim17ROCPRIM_400000_NS6detail17trampoline_kernelINS0_14default_configENS1_27scan_by_key_config_selectorImiEEZZNS1_16scan_by_key_implILNS1_25lookback_scan_determinismE0ELb0ES3_N6thrust23THRUST_200600_302600_NS18transform_iteratorI9row_indexNS9_17counting_iteratorImNS9_11use_defaultESD_SD_EESD_SD_EENS9_6detail15normal_iteratorINS9_10device_ptrIiEEEESK_iNS9_4plusIvEENS9_8equal_toIvEEiEE10hipError_tPvRmT2_T3_T4_T5_mT6_T7_P12ihipStream_tbENKUlT_T0_E_clISt17integral_constantIbLb1EES14_IbLb0EEEEDaS10_S11_EUlS10_E_NS1_11comp_targetILNS1_3genE0ELNS1_11target_archE4294967295ELNS1_3gpuE0ELNS1_3repE0EEENS1_30default_config_static_selectorELNS0_4arch9wavefront6targetE0EEEvT1_.num_vgpr, 0
	.set _ZN7rocprim17ROCPRIM_400000_NS6detail17trampoline_kernelINS0_14default_configENS1_27scan_by_key_config_selectorImiEEZZNS1_16scan_by_key_implILNS1_25lookback_scan_determinismE0ELb0ES3_N6thrust23THRUST_200600_302600_NS18transform_iteratorI9row_indexNS9_17counting_iteratorImNS9_11use_defaultESD_SD_EESD_SD_EENS9_6detail15normal_iteratorINS9_10device_ptrIiEEEESK_iNS9_4plusIvEENS9_8equal_toIvEEiEE10hipError_tPvRmT2_T3_T4_T5_mT6_T7_P12ihipStream_tbENKUlT_T0_E_clISt17integral_constantIbLb1EES14_IbLb0EEEEDaS10_S11_EUlS10_E_NS1_11comp_targetILNS1_3genE0ELNS1_11target_archE4294967295ELNS1_3gpuE0ELNS1_3repE0EEENS1_30default_config_static_selectorELNS0_4arch9wavefront6targetE0EEEvT1_.num_agpr, 0
	.set _ZN7rocprim17ROCPRIM_400000_NS6detail17trampoline_kernelINS0_14default_configENS1_27scan_by_key_config_selectorImiEEZZNS1_16scan_by_key_implILNS1_25lookback_scan_determinismE0ELb0ES3_N6thrust23THRUST_200600_302600_NS18transform_iteratorI9row_indexNS9_17counting_iteratorImNS9_11use_defaultESD_SD_EESD_SD_EENS9_6detail15normal_iteratorINS9_10device_ptrIiEEEESK_iNS9_4plusIvEENS9_8equal_toIvEEiEE10hipError_tPvRmT2_T3_T4_T5_mT6_T7_P12ihipStream_tbENKUlT_T0_E_clISt17integral_constantIbLb1EES14_IbLb0EEEEDaS10_S11_EUlS10_E_NS1_11comp_targetILNS1_3genE0ELNS1_11target_archE4294967295ELNS1_3gpuE0ELNS1_3repE0EEENS1_30default_config_static_selectorELNS0_4arch9wavefront6targetE0EEEvT1_.numbered_sgpr, 0
	.set _ZN7rocprim17ROCPRIM_400000_NS6detail17trampoline_kernelINS0_14default_configENS1_27scan_by_key_config_selectorImiEEZZNS1_16scan_by_key_implILNS1_25lookback_scan_determinismE0ELb0ES3_N6thrust23THRUST_200600_302600_NS18transform_iteratorI9row_indexNS9_17counting_iteratorImNS9_11use_defaultESD_SD_EESD_SD_EENS9_6detail15normal_iteratorINS9_10device_ptrIiEEEESK_iNS9_4plusIvEENS9_8equal_toIvEEiEE10hipError_tPvRmT2_T3_T4_T5_mT6_T7_P12ihipStream_tbENKUlT_T0_E_clISt17integral_constantIbLb1EES14_IbLb0EEEEDaS10_S11_EUlS10_E_NS1_11comp_targetILNS1_3genE0ELNS1_11target_archE4294967295ELNS1_3gpuE0ELNS1_3repE0EEENS1_30default_config_static_selectorELNS0_4arch9wavefront6targetE0EEEvT1_.num_named_barrier, 0
	.set _ZN7rocprim17ROCPRIM_400000_NS6detail17trampoline_kernelINS0_14default_configENS1_27scan_by_key_config_selectorImiEEZZNS1_16scan_by_key_implILNS1_25lookback_scan_determinismE0ELb0ES3_N6thrust23THRUST_200600_302600_NS18transform_iteratorI9row_indexNS9_17counting_iteratorImNS9_11use_defaultESD_SD_EESD_SD_EENS9_6detail15normal_iteratorINS9_10device_ptrIiEEEESK_iNS9_4plusIvEENS9_8equal_toIvEEiEE10hipError_tPvRmT2_T3_T4_T5_mT6_T7_P12ihipStream_tbENKUlT_T0_E_clISt17integral_constantIbLb1EES14_IbLb0EEEEDaS10_S11_EUlS10_E_NS1_11comp_targetILNS1_3genE0ELNS1_11target_archE4294967295ELNS1_3gpuE0ELNS1_3repE0EEENS1_30default_config_static_selectorELNS0_4arch9wavefront6targetE0EEEvT1_.private_seg_size, 0
	.set _ZN7rocprim17ROCPRIM_400000_NS6detail17trampoline_kernelINS0_14default_configENS1_27scan_by_key_config_selectorImiEEZZNS1_16scan_by_key_implILNS1_25lookback_scan_determinismE0ELb0ES3_N6thrust23THRUST_200600_302600_NS18transform_iteratorI9row_indexNS9_17counting_iteratorImNS9_11use_defaultESD_SD_EESD_SD_EENS9_6detail15normal_iteratorINS9_10device_ptrIiEEEESK_iNS9_4plusIvEENS9_8equal_toIvEEiEE10hipError_tPvRmT2_T3_T4_T5_mT6_T7_P12ihipStream_tbENKUlT_T0_E_clISt17integral_constantIbLb1EES14_IbLb0EEEEDaS10_S11_EUlS10_E_NS1_11comp_targetILNS1_3genE0ELNS1_11target_archE4294967295ELNS1_3gpuE0ELNS1_3repE0EEENS1_30default_config_static_selectorELNS0_4arch9wavefront6targetE0EEEvT1_.uses_vcc, 0
	.set _ZN7rocprim17ROCPRIM_400000_NS6detail17trampoline_kernelINS0_14default_configENS1_27scan_by_key_config_selectorImiEEZZNS1_16scan_by_key_implILNS1_25lookback_scan_determinismE0ELb0ES3_N6thrust23THRUST_200600_302600_NS18transform_iteratorI9row_indexNS9_17counting_iteratorImNS9_11use_defaultESD_SD_EESD_SD_EENS9_6detail15normal_iteratorINS9_10device_ptrIiEEEESK_iNS9_4plusIvEENS9_8equal_toIvEEiEE10hipError_tPvRmT2_T3_T4_T5_mT6_T7_P12ihipStream_tbENKUlT_T0_E_clISt17integral_constantIbLb1EES14_IbLb0EEEEDaS10_S11_EUlS10_E_NS1_11comp_targetILNS1_3genE0ELNS1_11target_archE4294967295ELNS1_3gpuE0ELNS1_3repE0EEENS1_30default_config_static_selectorELNS0_4arch9wavefront6targetE0EEEvT1_.uses_flat_scratch, 0
	.set _ZN7rocprim17ROCPRIM_400000_NS6detail17trampoline_kernelINS0_14default_configENS1_27scan_by_key_config_selectorImiEEZZNS1_16scan_by_key_implILNS1_25lookback_scan_determinismE0ELb0ES3_N6thrust23THRUST_200600_302600_NS18transform_iteratorI9row_indexNS9_17counting_iteratorImNS9_11use_defaultESD_SD_EESD_SD_EENS9_6detail15normal_iteratorINS9_10device_ptrIiEEEESK_iNS9_4plusIvEENS9_8equal_toIvEEiEE10hipError_tPvRmT2_T3_T4_T5_mT6_T7_P12ihipStream_tbENKUlT_T0_E_clISt17integral_constantIbLb1EES14_IbLb0EEEEDaS10_S11_EUlS10_E_NS1_11comp_targetILNS1_3genE0ELNS1_11target_archE4294967295ELNS1_3gpuE0ELNS1_3repE0EEENS1_30default_config_static_selectorELNS0_4arch9wavefront6targetE0EEEvT1_.has_dyn_sized_stack, 0
	.set _ZN7rocprim17ROCPRIM_400000_NS6detail17trampoline_kernelINS0_14default_configENS1_27scan_by_key_config_selectorImiEEZZNS1_16scan_by_key_implILNS1_25lookback_scan_determinismE0ELb0ES3_N6thrust23THRUST_200600_302600_NS18transform_iteratorI9row_indexNS9_17counting_iteratorImNS9_11use_defaultESD_SD_EESD_SD_EENS9_6detail15normal_iteratorINS9_10device_ptrIiEEEESK_iNS9_4plusIvEENS9_8equal_toIvEEiEE10hipError_tPvRmT2_T3_T4_T5_mT6_T7_P12ihipStream_tbENKUlT_T0_E_clISt17integral_constantIbLb1EES14_IbLb0EEEEDaS10_S11_EUlS10_E_NS1_11comp_targetILNS1_3genE0ELNS1_11target_archE4294967295ELNS1_3gpuE0ELNS1_3repE0EEENS1_30default_config_static_selectorELNS0_4arch9wavefront6targetE0EEEvT1_.has_recursion, 0
	.set _ZN7rocprim17ROCPRIM_400000_NS6detail17trampoline_kernelINS0_14default_configENS1_27scan_by_key_config_selectorImiEEZZNS1_16scan_by_key_implILNS1_25lookback_scan_determinismE0ELb0ES3_N6thrust23THRUST_200600_302600_NS18transform_iteratorI9row_indexNS9_17counting_iteratorImNS9_11use_defaultESD_SD_EESD_SD_EENS9_6detail15normal_iteratorINS9_10device_ptrIiEEEESK_iNS9_4plusIvEENS9_8equal_toIvEEiEE10hipError_tPvRmT2_T3_T4_T5_mT6_T7_P12ihipStream_tbENKUlT_T0_E_clISt17integral_constantIbLb1EES14_IbLb0EEEEDaS10_S11_EUlS10_E_NS1_11comp_targetILNS1_3genE0ELNS1_11target_archE4294967295ELNS1_3gpuE0ELNS1_3repE0EEENS1_30default_config_static_selectorELNS0_4arch9wavefront6targetE0EEEvT1_.has_indirect_call, 0
	.section	.AMDGPU.csdata,"",@progbits
; Kernel info:
; codeLenInByte = 0
; TotalNumSgprs: 0
; NumVgprs: 0
; ScratchSize: 0
; MemoryBound: 0
; FloatMode: 240
; IeeeMode: 1
; LDSByteSize: 0 bytes/workgroup (compile time only)
; SGPRBlocks: 0
; VGPRBlocks: 0
; NumSGPRsForWavesPerEU: 1
; NumVGPRsForWavesPerEU: 1
; Occupancy: 16
; WaveLimiterHint : 0
; COMPUTE_PGM_RSRC2:SCRATCH_EN: 0
; COMPUTE_PGM_RSRC2:USER_SGPR: 6
; COMPUTE_PGM_RSRC2:TRAP_HANDLER: 0
; COMPUTE_PGM_RSRC2:TGID_X_EN: 1
; COMPUTE_PGM_RSRC2:TGID_Y_EN: 0
; COMPUTE_PGM_RSRC2:TGID_Z_EN: 0
; COMPUTE_PGM_RSRC2:TIDIG_COMP_CNT: 0
	.section	.text._ZN7rocprim17ROCPRIM_400000_NS6detail17trampoline_kernelINS0_14default_configENS1_27scan_by_key_config_selectorImiEEZZNS1_16scan_by_key_implILNS1_25lookback_scan_determinismE0ELb0ES3_N6thrust23THRUST_200600_302600_NS18transform_iteratorI9row_indexNS9_17counting_iteratorImNS9_11use_defaultESD_SD_EESD_SD_EENS9_6detail15normal_iteratorINS9_10device_ptrIiEEEESK_iNS9_4plusIvEENS9_8equal_toIvEEiEE10hipError_tPvRmT2_T3_T4_T5_mT6_T7_P12ihipStream_tbENKUlT_T0_E_clISt17integral_constantIbLb1EES14_IbLb0EEEEDaS10_S11_EUlS10_E_NS1_11comp_targetILNS1_3genE10ELNS1_11target_archE1201ELNS1_3gpuE5ELNS1_3repE0EEENS1_30default_config_static_selectorELNS0_4arch9wavefront6targetE0EEEvT1_,"axG",@progbits,_ZN7rocprim17ROCPRIM_400000_NS6detail17trampoline_kernelINS0_14default_configENS1_27scan_by_key_config_selectorImiEEZZNS1_16scan_by_key_implILNS1_25lookback_scan_determinismE0ELb0ES3_N6thrust23THRUST_200600_302600_NS18transform_iteratorI9row_indexNS9_17counting_iteratorImNS9_11use_defaultESD_SD_EESD_SD_EENS9_6detail15normal_iteratorINS9_10device_ptrIiEEEESK_iNS9_4plusIvEENS9_8equal_toIvEEiEE10hipError_tPvRmT2_T3_T4_T5_mT6_T7_P12ihipStream_tbENKUlT_T0_E_clISt17integral_constantIbLb1EES14_IbLb0EEEEDaS10_S11_EUlS10_E_NS1_11comp_targetILNS1_3genE10ELNS1_11target_archE1201ELNS1_3gpuE5ELNS1_3repE0EEENS1_30default_config_static_selectorELNS0_4arch9wavefront6targetE0EEEvT1_,comdat
	.protected	_ZN7rocprim17ROCPRIM_400000_NS6detail17trampoline_kernelINS0_14default_configENS1_27scan_by_key_config_selectorImiEEZZNS1_16scan_by_key_implILNS1_25lookback_scan_determinismE0ELb0ES3_N6thrust23THRUST_200600_302600_NS18transform_iteratorI9row_indexNS9_17counting_iteratorImNS9_11use_defaultESD_SD_EESD_SD_EENS9_6detail15normal_iteratorINS9_10device_ptrIiEEEESK_iNS9_4plusIvEENS9_8equal_toIvEEiEE10hipError_tPvRmT2_T3_T4_T5_mT6_T7_P12ihipStream_tbENKUlT_T0_E_clISt17integral_constantIbLb1EES14_IbLb0EEEEDaS10_S11_EUlS10_E_NS1_11comp_targetILNS1_3genE10ELNS1_11target_archE1201ELNS1_3gpuE5ELNS1_3repE0EEENS1_30default_config_static_selectorELNS0_4arch9wavefront6targetE0EEEvT1_ ; -- Begin function _ZN7rocprim17ROCPRIM_400000_NS6detail17trampoline_kernelINS0_14default_configENS1_27scan_by_key_config_selectorImiEEZZNS1_16scan_by_key_implILNS1_25lookback_scan_determinismE0ELb0ES3_N6thrust23THRUST_200600_302600_NS18transform_iteratorI9row_indexNS9_17counting_iteratorImNS9_11use_defaultESD_SD_EESD_SD_EENS9_6detail15normal_iteratorINS9_10device_ptrIiEEEESK_iNS9_4plusIvEENS9_8equal_toIvEEiEE10hipError_tPvRmT2_T3_T4_T5_mT6_T7_P12ihipStream_tbENKUlT_T0_E_clISt17integral_constantIbLb1EES14_IbLb0EEEEDaS10_S11_EUlS10_E_NS1_11comp_targetILNS1_3genE10ELNS1_11target_archE1201ELNS1_3gpuE5ELNS1_3repE0EEENS1_30default_config_static_selectorELNS0_4arch9wavefront6targetE0EEEvT1_
	.globl	_ZN7rocprim17ROCPRIM_400000_NS6detail17trampoline_kernelINS0_14default_configENS1_27scan_by_key_config_selectorImiEEZZNS1_16scan_by_key_implILNS1_25lookback_scan_determinismE0ELb0ES3_N6thrust23THRUST_200600_302600_NS18transform_iteratorI9row_indexNS9_17counting_iteratorImNS9_11use_defaultESD_SD_EESD_SD_EENS9_6detail15normal_iteratorINS9_10device_ptrIiEEEESK_iNS9_4plusIvEENS9_8equal_toIvEEiEE10hipError_tPvRmT2_T3_T4_T5_mT6_T7_P12ihipStream_tbENKUlT_T0_E_clISt17integral_constantIbLb1EES14_IbLb0EEEEDaS10_S11_EUlS10_E_NS1_11comp_targetILNS1_3genE10ELNS1_11target_archE1201ELNS1_3gpuE5ELNS1_3repE0EEENS1_30default_config_static_selectorELNS0_4arch9wavefront6targetE0EEEvT1_
	.p2align	8
	.type	_ZN7rocprim17ROCPRIM_400000_NS6detail17trampoline_kernelINS0_14default_configENS1_27scan_by_key_config_selectorImiEEZZNS1_16scan_by_key_implILNS1_25lookback_scan_determinismE0ELb0ES3_N6thrust23THRUST_200600_302600_NS18transform_iteratorI9row_indexNS9_17counting_iteratorImNS9_11use_defaultESD_SD_EESD_SD_EENS9_6detail15normal_iteratorINS9_10device_ptrIiEEEESK_iNS9_4plusIvEENS9_8equal_toIvEEiEE10hipError_tPvRmT2_T3_T4_T5_mT6_T7_P12ihipStream_tbENKUlT_T0_E_clISt17integral_constantIbLb1EES14_IbLb0EEEEDaS10_S11_EUlS10_E_NS1_11comp_targetILNS1_3genE10ELNS1_11target_archE1201ELNS1_3gpuE5ELNS1_3repE0EEENS1_30default_config_static_selectorELNS0_4arch9wavefront6targetE0EEEvT1_,@function
_ZN7rocprim17ROCPRIM_400000_NS6detail17trampoline_kernelINS0_14default_configENS1_27scan_by_key_config_selectorImiEEZZNS1_16scan_by_key_implILNS1_25lookback_scan_determinismE0ELb0ES3_N6thrust23THRUST_200600_302600_NS18transform_iteratorI9row_indexNS9_17counting_iteratorImNS9_11use_defaultESD_SD_EESD_SD_EENS9_6detail15normal_iteratorINS9_10device_ptrIiEEEESK_iNS9_4plusIvEENS9_8equal_toIvEEiEE10hipError_tPvRmT2_T3_T4_T5_mT6_T7_P12ihipStream_tbENKUlT_T0_E_clISt17integral_constantIbLb1EES14_IbLb0EEEEDaS10_S11_EUlS10_E_NS1_11comp_targetILNS1_3genE10ELNS1_11target_archE1201ELNS1_3gpuE5ELNS1_3repE0EEENS1_30default_config_static_selectorELNS0_4arch9wavefront6targetE0EEEvT1_: ; @_ZN7rocprim17ROCPRIM_400000_NS6detail17trampoline_kernelINS0_14default_configENS1_27scan_by_key_config_selectorImiEEZZNS1_16scan_by_key_implILNS1_25lookback_scan_determinismE0ELb0ES3_N6thrust23THRUST_200600_302600_NS18transform_iteratorI9row_indexNS9_17counting_iteratorImNS9_11use_defaultESD_SD_EESD_SD_EENS9_6detail15normal_iteratorINS9_10device_ptrIiEEEESK_iNS9_4plusIvEENS9_8equal_toIvEEiEE10hipError_tPvRmT2_T3_T4_T5_mT6_T7_P12ihipStream_tbENKUlT_T0_E_clISt17integral_constantIbLb1EES14_IbLb0EEEEDaS10_S11_EUlS10_E_NS1_11comp_targetILNS1_3genE10ELNS1_11target_archE1201ELNS1_3gpuE5ELNS1_3repE0EEENS1_30default_config_static_selectorELNS0_4arch9wavefront6targetE0EEEvT1_
; %bb.0:
	.section	.rodata,"a",@progbits
	.p2align	6, 0x0
	.amdhsa_kernel _ZN7rocprim17ROCPRIM_400000_NS6detail17trampoline_kernelINS0_14default_configENS1_27scan_by_key_config_selectorImiEEZZNS1_16scan_by_key_implILNS1_25lookback_scan_determinismE0ELb0ES3_N6thrust23THRUST_200600_302600_NS18transform_iteratorI9row_indexNS9_17counting_iteratorImNS9_11use_defaultESD_SD_EESD_SD_EENS9_6detail15normal_iteratorINS9_10device_ptrIiEEEESK_iNS9_4plusIvEENS9_8equal_toIvEEiEE10hipError_tPvRmT2_T3_T4_T5_mT6_T7_P12ihipStream_tbENKUlT_T0_E_clISt17integral_constantIbLb1EES14_IbLb0EEEEDaS10_S11_EUlS10_E_NS1_11comp_targetILNS1_3genE10ELNS1_11target_archE1201ELNS1_3gpuE5ELNS1_3repE0EEENS1_30default_config_static_selectorELNS0_4arch9wavefront6targetE0EEEvT1_
		.amdhsa_group_segment_fixed_size 0
		.amdhsa_private_segment_fixed_size 0
		.amdhsa_kernarg_size 120
		.amdhsa_user_sgpr_count 6
		.amdhsa_user_sgpr_private_segment_buffer 1
		.amdhsa_user_sgpr_dispatch_ptr 0
		.amdhsa_user_sgpr_queue_ptr 0
		.amdhsa_user_sgpr_kernarg_segment_ptr 1
		.amdhsa_user_sgpr_dispatch_id 0
		.amdhsa_user_sgpr_flat_scratch_init 0
		.amdhsa_user_sgpr_private_segment_size 0
		.amdhsa_wavefront_size32 1
		.amdhsa_uses_dynamic_stack 0
		.amdhsa_system_sgpr_private_segment_wavefront_offset 0
		.amdhsa_system_sgpr_workgroup_id_x 1
		.amdhsa_system_sgpr_workgroup_id_y 0
		.amdhsa_system_sgpr_workgroup_id_z 0
		.amdhsa_system_sgpr_workgroup_info 0
		.amdhsa_system_vgpr_workitem_id 0
		.amdhsa_next_free_vgpr 1
		.amdhsa_next_free_sgpr 1
		.amdhsa_reserve_vcc 0
		.amdhsa_reserve_flat_scratch 0
		.amdhsa_float_round_mode_32 0
		.amdhsa_float_round_mode_16_64 0
		.amdhsa_float_denorm_mode_32 3
		.amdhsa_float_denorm_mode_16_64 3
		.amdhsa_dx10_clamp 1
		.amdhsa_ieee_mode 1
		.amdhsa_fp16_overflow 0
		.amdhsa_workgroup_processor_mode 1
		.amdhsa_memory_ordered 1
		.amdhsa_forward_progress 1
		.amdhsa_shared_vgpr_count 0
		.amdhsa_exception_fp_ieee_invalid_op 0
		.amdhsa_exception_fp_denorm_src 0
		.amdhsa_exception_fp_ieee_div_zero 0
		.amdhsa_exception_fp_ieee_overflow 0
		.amdhsa_exception_fp_ieee_underflow 0
		.amdhsa_exception_fp_ieee_inexact 0
		.amdhsa_exception_int_div_zero 0
	.end_amdhsa_kernel
	.section	.text._ZN7rocprim17ROCPRIM_400000_NS6detail17trampoline_kernelINS0_14default_configENS1_27scan_by_key_config_selectorImiEEZZNS1_16scan_by_key_implILNS1_25lookback_scan_determinismE0ELb0ES3_N6thrust23THRUST_200600_302600_NS18transform_iteratorI9row_indexNS9_17counting_iteratorImNS9_11use_defaultESD_SD_EESD_SD_EENS9_6detail15normal_iteratorINS9_10device_ptrIiEEEESK_iNS9_4plusIvEENS9_8equal_toIvEEiEE10hipError_tPvRmT2_T3_T4_T5_mT6_T7_P12ihipStream_tbENKUlT_T0_E_clISt17integral_constantIbLb1EES14_IbLb0EEEEDaS10_S11_EUlS10_E_NS1_11comp_targetILNS1_3genE10ELNS1_11target_archE1201ELNS1_3gpuE5ELNS1_3repE0EEENS1_30default_config_static_selectorELNS0_4arch9wavefront6targetE0EEEvT1_,"axG",@progbits,_ZN7rocprim17ROCPRIM_400000_NS6detail17trampoline_kernelINS0_14default_configENS1_27scan_by_key_config_selectorImiEEZZNS1_16scan_by_key_implILNS1_25lookback_scan_determinismE0ELb0ES3_N6thrust23THRUST_200600_302600_NS18transform_iteratorI9row_indexNS9_17counting_iteratorImNS9_11use_defaultESD_SD_EESD_SD_EENS9_6detail15normal_iteratorINS9_10device_ptrIiEEEESK_iNS9_4plusIvEENS9_8equal_toIvEEiEE10hipError_tPvRmT2_T3_T4_T5_mT6_T7_P12ihipStream_tbENKUlT_T0_E_clISt17integral_constantIbLb1EES14_IbLb0EEEEDaS10_S11_EUlS10_E_NS1_11comp_targetILNS1_3genE10ELNS1_11target_archE1201ELNS1_3gpuE5ELNS1_3repE0EEENS1_30default_config_static_selectorELNS0_4arch9wavefront6targetE0EEEvT1_,comdat
.Lfunc_end26:
	.size	_ZN7rocprim17ROCPRIM_400000_NS6detail17trampoline_kernelINS0_14default_configENS1_27scan_by_key_config_selectorImiEEZZNS1_16scan_by_key_implILNS1_25lookback_scan_determinismE0ELb0ES3_N6thrust23THRUST_200600_302600_NS18transform_iteratorI9row_indexNS9_17counting_iteratorImNS9_11use_defaultESD_SD_EESD_SD_EENS9_6detail15normal_iteratorINS9_10device_ptrIiEEEESK_iNS9_4plusIvEENS9_8equal_toIvEEiEE10hipError_tPvRmT2_T3_T4_T5_mT6_T7_P12ihipStream_tbENKUlT_T0_E_clISt17integral_constantIbLb1EES14_IbLb0EEEEDaS10_S11_EUlS10_E_NS1_11comp_targetILNS1_3genE10ELNS1_11target_archE1201ELNS1_3gpuE5ELNS1_3repE0EEENS1_30default_config_static_selectorELNS0_4arch9wavefront6targetE0EEEvT1_, .Lfunc_end26-_ZN7rocprim17ROCPRIM_400000_NS6detail17trampoline_kernelINS0_14default_configENS1_27scan_by_key_config_selectorImiEEZZNS1_16scan_by_key_implILNS1_25lookback_scan_determinismE0ELb0ES3_N6thrust23THRUST_200600_302600_NS18transform_iteratorI9row_indexNS9_17counting_iteratorImNS9_11use_defaultESD_SD_EESD_SD_EENS9_6detail15normal_iteratorINS9_10device_ptrIiEEEESK_iNS9_4plusIvEENS9_8equal_toIvEEiEE10hipError_tPvRmT2_T3_T4_T5_mT6_T7_P12ihipStream_tbENKUlT_T0_E_clISt17integral_constantIbLb1EES14_IbLb0EEEEDaS10_S11_EUlS10_E_NS1_11comp_targetILNS1_3genE10ELNS1_11target_archE1201ELNS1_3gpuE5ELNS1_3repE0EEENS1_30default_config_static_selectorELNS0_4arch9wavefront6targetE0EEEvT1_
                                        ; -- End function
	.set _ZN7rocprim17ROCPRIM_400000_NS6detail17trampoline_kernelINS0_14default_configENS1_27scan_by_key_config_selectorImiEEZZNS1_16scan_by_key_implILNS1_25lookback_scan_determinismE0ELb0ES3_N6thrust23THRUST_200600_302600_NS18transform_iteratorI9row_indexNS9_17counting_iteratorImNS9_11use_defaultESD_SD_EESD_SD_EENS9_6detail15normal_iteratorINS9_10device_ptrIiEEEESK_iNS9_4plusIvEENS9_8equal_toIvEEiEE10hipError_tPvRmT2_T3_T4_T5_mT6_T7_P12ihipStream_tbENKUlT_T0_E_clISt17integral_constantIbLb1EES14_IbLb0EEEEDaS10_S11_EUlS10_E_NS1_11comp_targetILNS1_3genE10ELNS1_11target_archE1201ELNS1_3gpuE5ELNS1_3repE0EEENS1_30default_config_static_selectorELNS0_4arch9wavefront6targetE0EEEvT1_.num_vgpr, 0
	.set _ZN7rocprim17ROCPRIM_400000_NS6detail17trampoline_kernelINS0_14default_configENS1_27scan_by_key_config_selectorImiEEZZNS1_16scan_by_key_implILNS1_25lookback_scan_determinismE0ELb0ES3_N6thrust23THRUST_200600_302600_NS18transform_iteratorI9row_indexNS9_17counting_iteratorImNS9_11use_defaultESD_SD_EESD_SD_EENS9_6detail15normal_iteratorINS9_10device_ptrIiEEEESK_iNS9_4plusIvEENS9_8equal_toIvEEiEE10hipError_tPvRmT2_T3_T4_T5_mT6_T7_P12ihipStream_tbENKUlT_T0_E_clISt17integral_constantIbLb1EES14_IbLb0EEEEDaS10_S11_EUlS10_E_NS1_11comp_targetILNS1_3genE10ELNS1_11target_archE1201ELNS1_3gpuE5ELNS1_3repE0EEENS1_30default_config_static_selectorELNS0_4arch9wavefront6targetE0EEEvT1_.num_agpr, 0
	.set _ZN7rocprim17ROCPRIM_400000_NS6detail17trampoline_kernelINS0_14default_configENS1_27scan_by_key_config_selectorImiEEZZNS1_16scan_by_key_implILNS1_25lookback_scan_determinismE0ELb0ES3_N6thrust23THRUST_200600_302600_NS18transform_iteratorI9row_indexNS9_17counting_iteratorImNS9_11use_defaultESD_SD_EESD_SD_EENS9_6detail15normal_iteratorINS9_10device_ptrIiEEEESK_iNS9_4plusIvEENS9_8equal_toIvEEiEE10hipError_tPvRmT2_T3_T4_T5_mT6_T7_P12ihipStream_tbENKUlT_T0_E_clISt17integral_constantIbLb1EES14_IbLb0EEEEDaS10_S11_EUlS10_E_NS1_11comp_targetILNS1_3genE10ELNS1_11target_archE1201ELNS1_3gpuE5ELNS1_3repE0EEENS1_30default_config_static_selectorELNS0_4arch9wavefront6targetE0EEEvT1_.numbered_sgpr, 0
	.set _ZN7rocprim17ROCPRIM_400000_NS6detail17trampoline_kernelINS0_14default_configENS1_27scan_by_key_config_selectorImiEEZZNS1_16scan_by_key_implILNS1_25lookback_scan_determinismE0ELb0ES3_N6thrust23THRUST_200600_302600_NS18transform_iteratorI9row_indexNS9_17counting_iteratorImNS9_11use_defaultESD_SD_EESD_SD_EENS9_6detail15normal_iteratorINS9_10device_ptrIiEEEESK_iNS9_4plusIvEENS9_8equal_toIvEEiEE10hipError_tPvRmT2_T3_T4_T5_mT6_T7_P12ihipStream_tbENKUlT_T0_E_clISt17integral_constantIbLb1EES14_IbLb0EEEEDaS10_S11_EUlS10_E_NS1_11comp_targetILNS1_3genE10ELNS1_11target_archE1201ELNS1_3gpuE5ELNS1_3repE0EEENS1_30default_config_static_selectorELNS0_4arch9wavefront6targetE0EEEvT1_.num_named_barrier, 0
	.set _ZN7rocprim17ROCPRIM_400000_NS6detail17trampoline_kernelINS0_14default_configENS1_27scan_by_key_config_selectorImiEEZZNS1_16scan_by_key_implILNS1_25lookback_scan_determinismE0ELb0ES3_N6thrust23THRUST_200600_302600_NS18transform_iteratorI9row_indexNS9_17counting_iteratorImNS9_11use_defaultESD_SD_EESD_SD_EENS9_6detail15normal_iteratorINS9_10device_ptrIiEEEESK_iNS9_4plusIvEENS9_8equal_toIvEEiEE10hipError_tPvRmT2_T3_T4_T5_mT6_T7_P12ihipStream_tbENKUlT_T0_E_clISt17integral_constantIbLb1EES14_IbLb0EEEEDaS10_S11_EUlS10_E_NS1_11comp_targetILNS1_3genE10ELNS1_11target_archE1201ELNS1_3gpuE5ELNS1_3repE0EEENS1_30default_config_static_selectorELNS0_4arch9wavefront6targetE0EEEvT1_.private_seg_size, 0
	.set _ZN7rocprim17ROCPRIM_400000_NS6detail17trampoline_kernelINS0_14default_configENS1_27scan_by_key_config_selectorImiEEZZNS1_16scan_by_key_implILNS1_25lookback_scan_determinismE0ELb0ES3_N6thrust23THRUST_200600_302600_NS18transform_iteratorI9row_indexNS9_17counting_iteratorImNS9_11use_defaultESD_SD_EESD_SD_EENS9_6detail15normal_iteratorINS9_10device_ptrIiEEEESK_iNS9_4plusIvEENS9_8equal_toIvEEiEE10hipError_tPvRmT2_T3_T4_T5_mT6_T7_P12ihipStream_tbENKUlT_T0_E_clISt17integral_constantIbLb1EES14_IbLb0EEEEDaS10_S11_EUlS10_E_NS1_11comp_targetILNS1_3genE10ELNS1_11target_archE1201ELNS1_3gpuE5ELNS1_3repE0EEENS1_30default_config_static_selectorELNS0_4arch9wavefront6targetE0EEEvT1_.uses_vcc, 0
	.set _ZN7rocprim17ROCPRIM_400000_NS6detail17trampoline_kernelINS0_14default_configENS1_27scan_by_key_config_selectorImiEEZZNS1_16scan_by_key_implILNS1_25lookback_scan_determinismE0ELb0ES3_N6thrust23THRUST_200600_302600_NS18transform_iteratorI9row_indexNS9_17counting_iteratorImNS9_11use_defaultESD_SD_EESD_SD_EENS9_6detail15normal_iteratorINS9_10device_ptrIiEEEESK_iNS9_4plusIvEENS9_8equal_toIvEEiEE10hipError_tPvRmT2_T3_T4_T5_mT6_T7_P12ihipStream_tbENKUlT_T0_E_clISt17integral_constantIbLb1EES14_IbLb0EEEEDaS10_S11_EUlS10_E_NS1_11comp_targetILNS1_3genE10ELNS1_11target_archE1201ELNS1_3gpuE5ELNS1_3repE0EEENS1_30default_config_static_selectorELNS0_4arch9wavefront6targetE0EEEvT1_.uses_flat_scratch, 0
	.set _ZN7rocprim17ROCPRIM_400000_NS6detail17trampoline_kernelINS0_14default_configENS1_27scan_by_key_config_selectorImiEEZZNS1_16scan_by_key_implILNS1_25lookback_scan_determinismE0ELb0ES3_N6thrust23THRUST_200600_302600_NS18transform_iteratorI9row_indexNS9_17counting_iteratorImNS9_11use_defaultESD_SD_EESD_SD_EENS9_6detail15normal_iteratorINS9_10device_ptrIiEEEESK_iNS9_4plusIvEENS9_8equal_toIvEEiEE10hipError_tPvRmT2_T3_T4_T5_mT6_T7_P12ihipStream_tbENKUlT_T0_E_clISt17integral_constantIbLb1EES14_IbLb0EEEEDaS10_S11_EUlS10_E_NS1_11comp_targetILNS1_3genE10ELNS1_11target_archE1201ELNS1_3gpuE5ELNS1_3repE0EEENS1_30default_config_static_selectorELNS0_4arch9wavefront6targetE0EEEvT1_.has_dyn_sized_stack, 0
	.set _ZN7rocprim17ROCPRIM_400000_NS6detail17trampoline_kernelINS0_14default_configENS1_27scan_by_key_config_selectorImiEEZZNS1_16scan_by_key_implILNS1_25lookback_scan_determinismE0ELb0ES3_N6thrust23THRUST_200600_302600_NS18transform_iteratorI9row_indexNS9_17counting_iteratorImNS9_11use_defaultESD_SD_EESD_SD_EENS9_6detail15normal_iteratorINS9_10device_ptrIiEEEESK_iNS9_4plusIvEENS9_8equal_toIvEEiEE10hipError_tPvRmT2_T3_T4_T5_mT6_T7_P12ihipStream_tbENKUlT_T0_E_clISt17integral_constantIbLb1EES14_IbLb0EEEEDaS10_S11_EUlS10_E_NS1_11comp_targetILNS1_3genE10ELNS1_11target_archE1201ELNS1_3gpuE5ELNS1_3repE0EEENS1_30default_config_static_selectorELNS0_4arch9wavefront6targetE0EEEvT1_.has_recursion, 0
	.set _ZN7rocprim17ROCPRIM_400000_NS6detail17trampoline_kernelINS0_14default_configENS1_27scan_by_key_config_selectorImiEEZZNS1_16scan_by_key_implILNS1_25lookback_scan_determinismE0ELb0ES3_N6thrust23THRUST_200600_302600_NS18transform_iteratorI9row_indexNS9_17counting_iteratorImNS9_11use_defaultESD_SD_EESD_SD_EENS9_6detail15normal_iteratorINS9_10device_ptrIiEEEESK_iNS9_4plusIvEENS9_8equal_toIvEEiEE10hipError_tPvRmT2_T3_T4_T5_mT6_T7_P12ihipStream_tbENKUlT_T0_E_clISt17integral_constantIbLb1EES14_IbLb0EEEEDaS10_S11_EUlS10_E_NS1_11comp_targetILNS1_3genE10ELNS1_11target_archE1201ELNS1_3gpuE5ELNS1_3repE0EEENS1_30default_config_static_selectorELNS0_4arch9wavefront6targetE0EEEvT1_.has_indirect_call, 0
	.section	.AMDGPU.csdata,"",@progbits
; Kernel info:
; codeLenInByte = 0
; TotalNumSgprs: 0
; NumVgprs: 0
; ScratchSize: 0
; MemoryBound: 0
; FloatMode: 240
; IeeeMode: 1
; LDSByteSize: 0 bytes/workgroup (compile time only)
; SGPRBlocks: 0
; VGPRBlocks: 0
; NumSGPRsForWavesPerEU: 1
; NumVGPRsForWavesPerEU: 1
; Occupancy: 16
; WaveLimiterHint : 0
; COMPUTE_PGM_RSRC2:SCRATCH_EN: 0
; COMPUTE_PGM_RSRC2:USER_SGPR: 6
; COMPUTE_PGM_RSRC2:TRAP_HANDLER: 0
; COMPUTE_PGM_RSRC2:TGID_X_EN: 1
; COMPUTE_PGM_RSRC2:TGID_Y_EN: 0
; COMPUTE_PGM_RSRC2:TGID_Z_EN: 0
; COMPUTE_PGM_RSRC2:TIDIG_COMP_CNT: 0
	.section	.text._ZN7rocprim17ROCPRIM_400000_NS6detail17trampoline_kernelINS0_14default_configENS1_27scan_by_key_config_selectorImiEEZZNS1_16scan_by_key_implILNS1_25lookback_scan_determinismE0ELb0ES3_N6thrust23THRUST_200600_302600_NS18transform_iteratorI9row_indexNS9_17counting_iteratorImNS9_11use_defaultESD_SD_EESD_SD_EENS9_6detail15normal_iteratorINS9_10device_ptrIiEEEESK_iNS9_4plusIvEENS9_8equal_toIvEEiEE10hipError_tPvRmT2_T3_T4_T5_mT6_T7_P12ihipStream_tbENKUlT_T0_E_clISt17integral_constantIbLb1EES14_IbLb0EEEEDaS10_S11_EUlS10_E_NS1_11comp_targetILNS1_3genE5ELNS1_11target_archE942ELNS1_3gpuE9ELNS1_3repE0EEENS1_30default_config_static_selectorELNS0_4arch9wavefront6targetE0EEEvT1_,"axG",@progbits,_ZN7rocprim17ROCPRIM_400000_NS6detail17trampoline_kernelINS0_14default_configENS1_27scan_by_key_config_selectorImiEEZZNS1_16scan_by_key_implILNS1_25lookback_scan_determinismE0ELb0ES3_N6thrust23THRUST_200600_302600_NS18transform_iteratorI9row_indexNS9_17counting_iteratorImNS9_11use_defaultESD_SD_EESD_SD_EENS9_6detail15normal_iteratorINS9_10device_ptrIiEEEESK_iNS9_4plusIvEENS9_8equal_toIvEEiEE10hipError_tPvRmT2_T3_T4_T5_mT6_T7_P12ihipStream_tbENKUlT_T0_E_clISt17integral_constantIbLb1EES14_IbLb0EEEEDaS10_S11_EUlS10_E_NS1_11comp_targetILNS1_3genE5ELNS1_11target_archE942ELNS1_3gpuE9ELNS1_3repE0EEENS1_30default_config_static_selectorELNS0_4arch9wavefront6targetE0EEEvT1_,comdat
	.protected	_ZN7rocprim17ROCPRIM_400000_NS6detail17trampoline_kernelINS0_14default_configENS1_27scan_by_key_config_selectorImiEEZZNS1_16scan_by_key_implILNS1_25lookback_scan_determinismE0ELb0ES3_N6thrust23THRUST_200600_302600_NS18transform_iteratorI9row_indexNS9_17counting_iteratorImNS9_11use_defaultESD_SD_EESD_SD_EENS9_6detail15normal_iteratorINS9_10device_ptrIiEEEESK_iNS9_4plusIvEENS9_8equal_toIvEEiEE10hipError_tPvRmT2_T3_T4_T5_mT6_T7_P12ihipStream_tbENKUlT_T0_E_clISt17integral_constantIbLb1EES14_IbLb0EEEEDaS10_S11_EUlS10_E_NS1_11comp_targetILNS1_3genE5ELNS1_11target_archE942ELNS1_3gpuE9ELNS1_3repE0EEENS1_30default_config_static_selectorELNS0_4arch9wavefront6targetE0EEEvT1_ ; -- Begin function _ZN7rocprim17ROCPRIM_400000_NS6detail17trampoline_kernelINS0_14default_configENS1_27scan_by_key_config_selectorImiEEZZNS1_16scan_by_key_implILNS1_25lookback_scan_determinismE0ELb0ES3_N6thrust23THRUST_200600_302600_NS18transform_iteratorI9row_indexNS9_17counting_iteratorImNS9_11use_defaultESD_SD_EESD_SD_EENS9_6detail15normal_iteratorINS9_10device_ptrIiEEEESK_iNS9_4plusIvEENS9_8equal_toIvEEiEE10hipError_tPvRmT2_T3_T4_T5_mT6_T7_P12ihipStream_tbENKUlT_T0_E_clISt17integral_constantIbLb1EES14_IbLb0EEEEDaS10_S11_EUlS10_E_NS1_11comp_targetILNS1_3genE5ELNS1_11target_archE942ELNS1_3gpuE9ELNS1_3repE0EEENS1_30default_config_static_selectorELNS0_4arch9wavefront6targetE0EEEvT1_
	.globl	_ZN7rocprim17ROCPRIM_400000_NS6detail17trampoline_kernelINS0_14default_configENS1_27scan_by_key_config_selectorImiEEZZNS1_16scan_by_key_implILNS1_25lookback_scan_determinismE0ELb0ES3_N6thrust23THRUST_200600_302600_NS18transform_iteratorI9row_indexNS9_17counting_iteratorImNS9_11use_defaultESD_SD_EESD_SD_EENS9_6detail15normal_iteratorINS9_10device_ptrIiEEEESK_iNS9_4plusIvEENS9_8equal_toIvEEiEE10hipError_tPvRmT2_T3_T4_T5_mT6_T7_P12ihipStream_tbENKUlT_T0_E_clISt17integral_constantIbLb1EES14_IbLb0EEEEDaS10_S11_EUlS10_E_NS1_11comp_targetILNS1_3genE5ELNS1_11target_archE942ELNS1_3gpuE9ELNS1_3repE0EEENS1_30default_config_static_selectorELNS0_4arch9wavefront6targetE0EEEvT1_
	.p2align	8
	.type	_ZN7rocprim17ROCPRIM_400000_NS6detail17trampoline_kernelINS0_14default_configENS1_27scan_by_key_config_selectorImiEEZZNS1_16scan_by_key_implILNS1_25lookback_scan_determinismE0ELb0ES3_N6thrust23THRUST_200600_302600_NS18transform_iteratorI9row_indexNS9_17counting_iteratorImNS9_11use_defaultESD_SD_EESD_SD_EENS9_6detail15normal_iteratorINS9_10device_ptrIiEEEESK_iNS9_4plusIvEENS9_8equal_toIvEEiEE10hipError_tPvRmT2_T3_T4_T5_mT6_T7_P12ihipStream_tbENKUlT_T0_E_clISt17integral_constantIbLb1EES14_IbLb0EEEEDaS10_S11_EUlS10_E_NS1_11comp_targetILNS1_3genE5ELNS1_11target_archE942ELNS1_3gpuE9ELNS1_3repE0EEENS1_30default_config_static_selectorELNS0_4arch9wavefront6targetE0EEEvT1_,@function
_ZN7rocprim17ROCPRIM_400000_NS6detail17trampoline_kernelINS0_14default_configENS1_27scan_by_key_config_selectorImiEEZZNS1_16scan_by_key_implILNS1_25lookback_scan_determinismE0ELb0ES3_N6thrust23THRUST_200600_302600_NS18transform_iteratorI9row_indexNS9_17counting_iteratorImNS9_11use_defaultESD_SD_EESD_SD_EENS9_6detail15normal_iteratorINS9_10device_ptrIiEEEESK_iNS9_4plusIvEENS9_8equal_toIvEEiEE10hipError_tPvRmT2_T3_T4_T5_mT6_T7_P12ihipStream_tbENKUlT_T0_E_clISt17integral_constantIbLb1EES14_IbLb0EEEEDaS10_S11_EUlS10_E_NS1_11comp_targetILNS1_3genE5ELNS1_11target_archE942ELNS1_3gpuE9ELNS1_3repE0EEENS1_30default_config_static_selectorELNS0_4arch9wavefront6targetE0EEEvT1_: ; @_ZN7rocprim17ROCPRIM_400000_NS6detail17trampoline_kernelINS0_14default_configENS1_27scan_by_key_config_selectorImiEEZZNS1_16scan_by_key_implILNS1_25lookback_scan_determinismE0ELb0ES3_N6thrust23THRUST_200600_302600_NS18transform_iteratorI9row_indexNS9_17counting_iteratorImNS9_11use_defaultESD_SD_EESD_SD_EENS9_6detail15normal_iteratorINS9_10device_ptrIiEEEESK_iNS9_4plusIvEENS9_8equal_toIvEEiEE10hipError_tPvRmT2_T3_T4_T5_mT6_T7_P12ihipStream_tbENKUlT_T0_E_clISt17integral_constantIbLb1EES14_IbLb0EEEEDaS10_S11_EUlS10_E_NS1_11comp_targetILNS1_3genE5ELNS1_11target_archE942ELNS1_3gpuE9ELNS1_3repE0EEENS1_30default_config_static_selectorELNS0_4arch9wavefront6targetE0EEEvT1_
; %bb.0:
	.section	.rodata,"a",@progbits
	.p2align	6, 0x0
	.amdhsa_kernel _ZN7rocprim17ROCPRIM_400000_NS6detail17trampoline_kernelINS0_14default_configENS1_27scan_by_key_config_selectorImiEEZZNS1_16scan_by_key_implILNS1_25lookback_scan_determinismE0ELb0ES3_N6thrust23THRUST_200600_302600_NS18transform_iteratorI9row_indexNS9_17counting_iteratorImNS9_11use_defaultESD_SD_EESD_SD_EENS9_6detail15normal_iteratorINS9_10device_ptrIiEEEESK_iNS9_4plusIvEENS9_8equal_toIvEEiEE10hipError_tPvRmT2_T3_T4_T5_mT6_T7_P12ihipStream_tbENKUlT_T0_E_clISt17integral_constantIbLb1EES14_IbLb0EEEEDaS10_S11_EUlS10_E_NS1_11comp_targetILNS1_3genE5ELNS1_11target_archE942ELNS1_3gpuE9ELNS1_3repE0EEENS1_30default_config_static_selectorELNS0_4arch9wavefront6targetE0EEEvT1_
		.amdhsa_group_segment_fixed_size 0
		.amdhsa_private_segment_fixed_size 0
		.amdhsa_kernarg_size 120
		.amdhsa_user_sgpr_count 6
		.amdhsa_user_sgpr_private_segment_buffer 1
		.amdhsa_user_sgpr_dispatch_ptr 0
		.amdhsa_user_sgpr_queue_ptr 0
		.amdhsa_user_sgpr_kernarg_segment_ptr 1
		.amdhsa_user_sgpr_dispatch_id 0
		.amdhsa_user_sgpr_flat_scratch_init 0
		.amdhsa_user_sgpr_private_segment_size 0
		.amdhsa_wavefront_size32 1
		.amdhsa_uses_dynamic_stack 0
		.amdhsa_system_sgpr_private_segment_wavefront_offset 0
		.amdhsa_system_sgpr_workgroup_id_x 1
		.amdhsa_system_sgpr_workgroup_id_y 0
		.amdhsa_system_sgpr_workgroup_id_z 0
		.amdhsa_system_sgpr_workgroup_info 0
		.amdhsa_system_vgpr_workitem_id 0
		.amdhsa_next_free_vgpr 1
		.amdhsa_next_free_sgpr 1
		.amdhsa_reserve_vcc 0
		.amdhsa_reserve_flat_scratch 0
		.amdhsa_float_round_mode_32 0
		.amdhsa_float_round_mode_16_64 0
		.amdhsa_float_denorm_mode_32 3
		.amdhsa_float_denorm_mode_16_64 3
		.amdhsa_dx10_clamp 1
		.amdhsa_ieee_mode 1
		.amdhsa_fp16_overflow 0
		.amdhsa_workgroup_processor_mode 1
		.amdhsa_memory_ordered 1
		.amdhsa_forward_progress 1
		.amdhsa_shared_vgpr_count 0
		.amdhsa_exception_fp_ieee_invalid_op 0
		.amdhsa_exception_fp_denorm_src 0
		.amdhsa_exception_fp_ieee_div_zero 0
		.amdhsa_exception_fp_ieee_overflow 0
		.amdhsa_exception_fp_ieee_underflow 0
		.amdhsa_exception_fp_ieee_inexact 0
		.amdhsa_exception_int_div_zero 0
	.end_amdhsa_kernel
	.section	.text._ZN7rocprim17ROCPRIM_400000_NS6detail17trampoline_kernelINS0_14default_configENS1_27scan_by_key_config_selectorImiEEZZNS1_16scan_by_key_implILNS1_25lookback_scan_determinismE0ELb0ES3_N6thrust23THRUST_200600_302600_NS18transform_iteratorI9row_indexNS9_17counting_iteratorImNS9_11use_defaultESD_SD_EESD_SD_EENS9_6detail15normal_iteratorINS9_10device_ptrIiEEEESK_iNS9_4plusIvEENS9_8equal_toIvEEiEE10hipError_tPvRmT2_T3_T4_T5_mT6_T7_P12ihipStream_tbENKUlT_T0_E_clISt17integral_constantIbLb1EES14_IbLb0EEEEDaS10_S11_EUlS10_E_NS1_11comp_targetILNS1_3genE5ELNS1_11target_archE942ELNS1_3gpuE9ELNS1_3repE0EEENS1_30default_config_static_selectorELNS0_4arch9wavefront6targetE0EEEvT1_,"axG",@progbits,_ZN7rocprim17ROCPRIM_400000_NS6detail17trampoline_kernelINS0_14default_configENS1_27scan_by_key_config_selectorImiEEZZNS1_16scan_by_key_implILNS1_25lookback_scan_determinismE0ELb0ES3_N6thrust23THRUST_200600_302600_NS18transform_iteratorI9row_indexNS9_17counting_iteratorImNS9_11use_defaultESD_SD_EESD_SD_EENS9_6detail15normal_iteratorINS9_10device_ptrIiEEEESK_iNS9_4plusIvEENS9_8equal_toIvEEiEE10hipError_tPvRmT2_T3_T4_T5_mT6_T7_P12ihipStream_tbENKUlT_T0_E_clISt17integral_constantIbLb1EES14_IbLb0EEEEDaS10_S11_EUlS10_E_NS1_11comp_targetILNS1_3genE5ELNS1_11target_archE942ELNS1_3gpuE9ELNS1_3repE0EEENS1_30default_config_static_selectorELNS0_4arch9wavefront6targetE0EEEvT1_,comdat
.Lfunc_end27:
	.size	_ZN7rocprim17ROCPRIM_400000_NS6detail17trampoline_kernelINS0_14default_configENS1_27scan_by_key_config_selectorImiEEZZNS1_16scan_by_key_implILNS1_25lookback_scan_determinismE0ELb0ES3_N6thrust23THRUST_200600_302600_NS18transform_iteratorI9row_indexNS9_17counting_iteratorImNS9_11use_defaultESD_SD_EESD_SD_EENS9_6detail15normal_iteratorINS9_10device_ptrIiEEEESK_iNS9_4plusIvEENS9_8equal_toIvEEiEE10hipError_tPvRmT2_T3_T4_T5_mT6_T7_P12ihipStream_tbENKUlT_T0_E_clISt17integral_constantIbLb1EES14_IbLb0EEEEDaS10_S11_EUlS10_E_NS1_11comp_targetILNS1_3genE5ELNS1_11target_archE942ELNS1_3gpuE9ELNS1_3repE0EEENS1_30default_config_static_selectorELNS0_4arch9wavefront6targetE0EEEvT1_, .Lfunc_end27-_ZN7rocprim17ROCPRIM_400000_NS6detail17trampoline_kernelINS0_14default_configENS1_27scan_by_key_config_selectorImiEEZZNS1_16scan_by_key_implILNS1_25lookback_scan_determinismE0ELb0ES3_N6thrust23THRUST_200600_302600_NS18transform_iteratorI9row_indexNS9_17counting_iteratorImNS9_11use_defaultESD_SD_EESD_SD_EENS9_6detail15normal_iteratorINS9_10device_ptrIiEEEESK_iNS9_4plusIvEENS9_8equal_toIvEEiEE10hipError_tPvRmT2_T3_T4_T5_mT6_T7_P12ihipStream_tbENKUlT_T0_E_clISt17integral_constantIbLb1EES14_IbLb0EEEEDaS10_S11_EUlS10_E_NS1_11comp_targetILNS1_3genE5ELNS1_11target_archE942ELNS1_3gpuE9ELNS1_3repE0EEENS1_30default_config_static_selectorELNS0_4arch9wavefront6targetE0EEEvT1_
                                        ; -- End function
	.set _ZN7rocprim17ROCPRIM_400000_NS6detail17trampoline_kernelINS0_14default_configENS1_27scan_by_key_config_selectorImiEEZZNS1_16scan_by_key_implILNS1_25lookback_scan_determinismE0ELb0ES3_N6thrust23THRUST_200600_302600_NS18transform_iteratorI9row_indexNS9_17counting_iteratorImNS9_11use_defaultESD_SD_EESD_SD_EENS9_6detail15normal_iteratorINS9_10device_ptrIiEEEESK_iNS9_4plusIvEENS9_8equal_toIvEEiEE10hipError_tPvRmT2_T3_T4_T5_mT6_T7_P12ihipStream_tbENKUlT_T0_E_clISt17integral_constantIbLb1EES14_IbLb0EEEEDaS10_S11_EUlS10_E_NS1_11comp_targetILNS1_3genE5ELNS1_11target_archE942ELNS1_3gpuE9ELNS1_3repE0EEENS1_30default_config_static_selectorELNS0_4arch9wavefront6targetE0EEEvT1_.num_vgpr, 0
	.set _ZN7rocprim17ROCPRIM_400000_NS6detail17trampoline_kernelINS0_14default_configENS1_27scan_by_key_config_selectorImiEEZZNS1_16scan_by_key_implILNS1_25lookback_scan_determinismE0ELb0ES3_N6thrust23THRUST_200600_302600_NS18transform_iteratorI9row_indexNS9_17counting_iteratorImNS9_11use_defaultESD_SD_EESD_SD_EENS9_6detail15normal_iteratorINS9_10device_ptrIiEEEESK_iNS9_4plusIvEENS9_8equal_toIvEEiEE10hipError_tPvRmT2_T3_T4_T5_mT6_T7_P12ihipStream_tbENKUlT_T0_E_clISt17integral_constantIbLb1EES14_IbLb0EEEEDaS10_S11_EUlS10_E_NS1_11comp_targetILNS1_3genE5ELNS1_11target_archE942ELNS1_3gpuE9ELNS1_3repE0EEENS1_30default_config_static_selectorELNS0_4arch9wavefront6targetE0EEEvT1_.num_agpr, 0
	.set _ZN7rocprim17ROCPRIM_400000_NS6detail17trampoline_kernelINS0_14default_configENS1_27scan_by_key_config_selectorImiEEZZNS1_16scan_by_key_implILNS1_25lookback_scan_determinismE0ELb0ES3_N6thrust23THRUST_200600_302600_NS18transform_iteratorI9row_indexNS9_17counting_iteratorImNS9_11use_defaultESD_SD_EESD_SD_EENS9_6detail15normal_iteratorINS9_10device_ptrIiEEEESK_iNS9_4plusIvEENS9_8equal_toIvEEiEE10hipError_tPvRmT2_T3_T4_T5_mT6_T7_P12ihipStream_tbENKUlT_T0_E_clISt17integral_constantIbLb1EES14_IbLb0EEEEDaS10_S11_EUlS10_E_NS1_11comp_targetILNS1_3genE5ELNS1_11target_archE942ELNS1_3gpuE9ELNS1_3repE0EEENS1_30default_config_static_selectorELNS0_4arch9wavefront6targetE0EEEvT1_.numbered_sgpr, 0
	.set _ZN7rocprim17ROCPRIM_400000_NS6detail17trampoline_kernelINS0_14default_configENS1_27scan_by_key_config_selectorImiEEZZNS1_16scan_by_key_implILNS1_25lookback_scan_determinismE0ELb0ES3_N6thrust23THRUST_200600_302600_NS18transform_iteratorI9row_indexNS9_17counting_iteratorImNS9_11use_defaultESD_SD_EESD_SD_EENS9_6detail15normal_iteratorINS9_10device_ptrIiEEEESK_iNS9_4plusIvEENS9_8equal_toIvEEiEE10hipError_tPvRmT2_T3_T4_T5_mT6_T7_P12ihipStream_tbENKUlT_T0_E_clISt17integral_constantIbLb1EES14_IbLb0EEEEDaS10_S11_EUlS10_E_NS1_11comp_targetILNS1_3genE5ELNS1_11target_archE942ELNS1_3gpuE9ELNS1_3repE0EEENS1_30default_config_static_selectorELNS0_4arch9wavefront6targetE0EEEvT1_.num_named_barrier, 0
	.set _ZN7rocprim17ROCPRIM_400000_NS6detail17trampoline_kernelINS0_14default_configENS1_27scan_by_key_config_selectorImiEEZZNS1_16scan_by_key_implILNS1_25lookback_scan_determinismE0ELb0ES3_N6thrust23THRUST_200600_302600_NS18transform_iteratorI9row_indexNS9_17counting_iteratorImNS9_11use_defaultESD_SD_EESD_SD_EENS9_6detail15normal_iteratorINS9_10device_ptrIiEEEESK_iNS9_4plusIvEENS9_8equal_toIvEEiEE10hipError_tPvRmT2_T3_T4_T5_mT6_T7_P12ihipStream_tbENKUlT_T0_E_clISt17integral_constantIbLb1EES14_IbLb0EEEEDaS10_S11_EUlS10_E_NS1_11comp_targetILNS1_3genE5ELNS1_11target_archE942ELNS1_3gpuE9ELNS1_3repE0EEENS1_30default_config_static_selectorELNS0_4arch9wavefront6targetE0EEEvT1_.private_seg_size, 0
	.set _ZN7rocprim17ROCPRIM_400000_NS6detail17trampoline_kernelINS0_14default_configENS1_27scan_by_key_config_selectorImiEEZZNS1_16scan_by_key_implILNS1_25lookback_scan_determinismE0ELb0ES3_N6thrust23THRUST_200600_302600_NS18transform_iteratorI9row_indexNS9_17counting_iteratorImNS9_11use_defaultESD_SD_EESD_SD_EENS9_6detail15normal_iteratorINS9_10device_ptrIiEEEESK_iNS9_4plusIvEENS9_8equal_toIvEEiEE10hipError_tPvRmT2_T3_T4_T5_mT6_T7_P12ihipStream_tbENKUlT_T0_E_clISt17integral_constantIbLb1EES14_IbLb0EEEEDaS10_S11_EUlS10_E_NS1_11comp_targetILNS1_3genE5ELNS1_11target_archE942ELNS1_3gpuE9ELNS1_3repE0EEENS1_30default_config_static_selectorELNS0_4arch9wavefront6targetE0EEEvT1_.uses_vcc, 0
	.set _ZN7rocprim17ROCPRIM_400000_NS6detail17trampoline_kernelINS0_14default_configENS1_27scan_by_key_config_selectorImiEEZZNS1_16scan_by_key_implILNS1_25lookback_scan_determinismE0ELb0ES3_N6thrust23THRUST_200600_302600_NS18transform_iteratorI9row_indexNS9_17counting_iteratorImNS9_11use_defaultESD_SD_EESD_SD_EENS9_6detail15normal_iteratorINS9_10device_ptrIiEEEESK_iNS9_4plusIvEENS9_8equal_toIvEEiEE10hipError_tPvRmT2_T3_T4_T5_mT6_T7_P12ihipStream_tbENKUlT_T0_E_clISt17integral_constantIbLb1EES14_IbLb0EEEEDaS10_S11_EUlS10_E_NS1_11comp_targetILNS1_3genE5ELNS1_11target_archE942ELNS1_3gpuE9ELNS1_3repE0EEENS1_30default_config_static_selectorELNS0_4arch9wavefront6targetE0EEEvT1_.uses_flat_scratch, 0
	.set _ZN7rocprim17ROCPRIM_400000_NS6detail17trampoline_kernelINS0_14default_configENS1_27scan_by_key_config_selectorImiEEZZNS1_16scan_by_key_implILNS1_25lookback_scan_determinismE0ELb0ES3_N6thrust23THRUST_200600_302600_NS18transform_iteratorI9row_indexNS9_17counting_iteratorImNS9_11use_defaultESD_SD_EESD_SD_EENS9_6detail15normal_iteratorINS9_10device_ptrIiEEEESK_iNS9_4plusIvEENS9_8equal_toIvEEiEE10hipError_tPvRmT2_T3_T4_T5_mT6_T7_P12ihipStream_tbENKUlT_T0_E_clISt17integral_constantIbLb1EES14_IbLb0EEEEDaS10_S11_EUlS10_E_NS1_11comp_targetILNS1_3genE5ELNS1_11target_archE942ELNS1_3gpuE9ELNS1_3repE0EEENS1_30default_config_static_selectorELNS0_4arch9wavefront6targetE0EEEvT1_.has_dyn_sized_stack, 0
	.set _ZN7rocprim17ROCPRIM_400000_NS6detail17trampoline_kernelINS0_14default_configENS1_27scan_by_key_config_selectorImiEEZZNS1_16scan_by_key_implILNS1_25lookback_scan_determinismE0ELb0ES3_N6thrust23THRUST_200600_302600_NS18transform_iteratorI9row_indexNS9_17counting_iteratorImNS9_11use_defaultESD_SD_EESD_SD_EENS9_6detail15normal_iteratorINS9_10device_ptrIiEEEESK_iNS9_4plusIvEENS9_8equal_toIvEEiEE10hipError_tPvRmT2_T3_T4_T5_mT6_T7_P12ihipStream_tbENKUlT_T0_E_clISt17integral_constantIbLb1EES14_IbLb0EEEEDaS10_S11_EUlS10_E_NS1_11comp_targetILNS1_3genE5ELNS1_11target_archE942ELNS1_3gpuE9ELNS1_3repE0EEENS1_30default_config_static_selectorELNS0_4arch9wavefront6targetE0EEEvT1_.has_recursion, 0
	.set _ZN7rocprim17ROCPRIM_400000_NS6detail17trampoline_kernelINS0_14default_configENS1_27scan_by_key_config_selectorImiEEZZNS1_16scan_by_key_implILNS1_25lookback_scan_determinismE0ELb0ES3_N6thrust23THRUST_200600_302600_NS18transform_iteratorI9row_indexNS9_17counting_iteratorImNS9_11use_defaultESD_SD_EESD_SD_EENS9_6detail15normal_iteratorINS9_10device_ptrIiEEEESK_iNS9_4plusIvEENS9_8equal_toIvEEiEE10hipError_tPvRmT2_T3_T4_T5_mT6_T7_P12ihipStream_tbENKUlT_T0_E_clISt17integral_constantIbLb1EES14_IbLb0EEEEDaS10_S11_EUlS10_E_NS1_11comp_targetILNS1_3genE5ELNS1_11target_archE942ELNS1_3gpuE9ELNS1_3repE0EEENS1_30default_config_static_selectorELNS0_4arch9wavefront6targetE0EEEvT1_.has_indirect_call, 0
	.section	.AMDGPU.csdata,"",@progbits
; Kernel info:
; codeLenInByte = 0
; TotalNumSgprs: 0
; NumVgprs: 0
; ScratchSize: 0
; MemoryBound: 0
; FloatMode: 240
; IeeeMode: 1
; LDSByteSize: 0 bytes/workgroup (compile time only)
; SGPRBlocks: 0
; VGPRBlocks: 0
; NumSGPRsForWavesPerEU: 1
; NumVGPRsForWavesPerEU: 1
; Occupancy: 16
; WaveLimiterHint : 0
; COMPUTE_PGM_RSRC2:SCRATCH_EN: 0
; COMPUTE_PGM_RSRC2:USER_SGPR: 6
; COMPUTE_PGM_RSRC2:TRAP_HANDLER: 0
; COMPUTE_PGM_RSRC2:TGID_X_EN: 1
; COMPUTE_PGM_RSRC2:TGID_Y_EN: 0
; COMPUTE_PGM_RSRC2:TGID_Z_EN: 0
; COMPUTE_PGM_RSRC2:TIDIG_COMP_CNT: 0
	.section	.text._ZN7rocprim17ROCPRIM_400000_NS6detail17trampoline_kernelINS0_14default_configENS1_27scan_by_key_config_selectorImiEEZZNS1_16scan_by_key_implILNS1_25lookback_scan_determinismE0ELb0ES3_N6thrust23THRUST_200600_302600_NS18transform_iteratorI9row_indexNS9_17counting_iteratorImNS9_11use_defaultESD_SD_EESD_SD_EENS9_6detail15normal_iteratorINS9_10device_ptrIiEEEESK_iNS9_4plusIvEENS9_8equal_toIvEEiEE10hipError_tPvRmT2_T3_T4_T5_mT6_T7_P12ihipStream_tbENKUlT_T0_E_clISt17integral_constantIbLb1EES14_IbLb0EEEEDaS10_S11_EUlS10_E_NS1_11comp_targetILNS1_3genE4ELNS1_11target_archE910ELNS1_3gpuE8ELNS1_3repE0EEENS1_30default_config_static_selectorELNS0_4arch9wavefront6targetE0EEEvT1_,"axG",@progbits,_ZN7rocprim17ROCPRIM_400000_NS6detail17trampoline_kernelINS0_14default_configENS1_27scan_by_key_config_selectorImiEEZZNS1_16scan_by_key_implILNS1_25lookback_scan_determinismE0ELb0ES3_N6thrust23THRUST_200600_302600_NS18transform_iteratorI9row_indexNS9_17counting_iteratorImNS9_11use_defaultESD_SD_EESD_SD_EENS9_6detail15normal_iteratorINS9_10device_ptrIiEEEESK_iNS9_4plusIvEENS9_8equal_toIvEEiEE10hipError_tPvRmT2_T3_T4_T5_mT6_T7_P12ihipStream_tbENKUlT_T0_E_clISt17integral_constantIbLb1EES14_IbLb0EEEEDaS10_S11_EUlS10_E_NS1_11comp_targetILNS1_3genE4ELNS1_11target_archE910ELNS1_3gpuE8ELNS1_3repE0EEENS1_30default_config_static_selectorELNS0_4arch9wavefront6targetE0EEEvT1_,comdat
	.protected	_ZN7rocprim17ROCPRIM_400000_NS6detail17trampoline_kernelINS0_14default_configENS1_27scan_by_key_config_selectorImiEEZZNS1_16scan_by_key_implILNS1_25lookback_scan_determinismE0ELb0ES3_N6thrust23THRUST_200600_302600_NS18transform_iteratorI9row_indexNS9_17counting_iteratorImNS9_11use_defaultESD_SD_EESD_SD_EENS9_6detail15normal_iteratorINS9_10device_ptrIiEEEESK_iNS9_4plusIvEENS9_8equal_toIvEEiEE10hipError_tPvRmT2_T3_T4_T5_mT6_T7_P12ihipStream_tbENKUlT_T0_E_clISt17integral_constantIbLb1EES14_IbLb0EEEEDaS10_S11_EUlS10_E_NS1_11comp_targetILNS1_3genE4ELNS1_11target_archE910ELNS1_3gpuE8ELNS1_3repE0EEENS1_30default_config_static_selectorELNS0_4arch9wavefront6targetE0EEEvT1_ ; -- Begin function _ZN7rocprim17ROCPRIM_400000_NS6detail17trampoline_kernelINS0_14default_configENS1_27scan_by_key_config_selectorImiEEZZNS1_16scan_by_key_implILNS1_25lookback_scan_determinismE0ELb0ES3_N6thrust23THRUST_200600_302600_NS18transform_iteratorI9row_indexNS9_17counting_iteratorImNS9_11use_defaultESD_SD_EESD_SD_EENS9_6detail15normal_iteratorINS9_10device_ptrIiEEEESK_iNS9_4plusIvEENS9_8equal_toIvEEiEE10hipError_tPvRmT2_T3_T4_T5_mT6_T7_P12ihipStream_tbENKUlT_T0_E_clISt17integral_constantIbLb1EES14_IbLb0EEEEDaS10_S11_EUlS10_E_NS1_11comp_targetILNS1_3genE4ELNS1_11target_archE910ELNS1_3gpuE8ELNS1_3repE0EEENS1_30default_config_static_selectorELNS0_4arch9wavefront6targetE0EEEvT1_
	.globl	_ZN7rocprim17ROCPRIM_400000_NS6detail17trampoline_kernelINS0_14default_configENS1_27scan_by_key_config_selectorImiEEZZNS1_16scan_by_key_implILNS1_25lookback_scan_determinismE0ELb0ES3_N6thrust23THRUST_200600_302600_NS18transform_iteratorI9row_indexNS9_17counting_iteratorImNS9_11use_defaultESD_SD_EESD_SD_EENS9_6detail15normal_iteratorINS9_10device_ptrIiEEEESK_iNS9_4plusIvEENS9_8equal_toIvEEiEE10hipError_tPvRmT2_T3_T4_T5_mT6_T7_P12ihipStream_tbENKUlT_T0_E_clISt17integral_constantIbLb1EES14_IbLb0EEEEDaS10_S11_EUlS10_E_NS1_11comp_targetILNS1_3genE4ELNS1_11target_archE910ELNS1_3gpuE8ELNS1_3repE0EEENS1_30default_config_static_selectorELNS0_4arch9wavefront6targetE0EEEvT1_
	.p2align	8
	.type	_ZN7rocprim17ROCPRIM_400000_NS6detail17trampoline_kernelINS0_14default_configENS1_27scan_by_key_config_selectorImiEEZZNS1_16scan_by_key_implILNS1_25lookback_scan_determinismE0ELb0ES3_N6thrust23THRUST_200600_302600_NS18transform_iteratorI9row_indexNS9_17counting_iteratorImNS9_11use_defaultESD_SD_EESD_SD_EENS9_6detail15normal_iteratorINS9_10device_ptrIiEEEESK_iNS9_4plusIvEENS9_8equal_toIvEEiEE10hipError_tPvRmT2_T3_T4_T5_mT6_T7_P12ihipStream_tbENKUlT_T0_E_clISt17integral_constantIbLb1EES14_IbLb0EEEEDaS10_S11_EUlS10_E_NS1_11comp_targetILNS1_3genE4ELNS1_11target_archE910ELNS1_3gpuE8ELNS1_3repE0EEENS1_30default_config_static_selectorELNS0_4arch9wavefront6targetE0EEEvT1_,@function
_ZN7rocprim17ROCPRIM_400000_NS6detail17trampoline_kernelINS0_14default_configENS1_27scan_by_key_config_selectorImiEEZZNS1_16scan_by_key_implILNS1_25lookback_scan_determinismE0ELb0ES3_N6thrust23THRUST_200600_302600_NS18transform_iteratorI9row_indexNS9_17counting_iteratorImNS9_11use_defaultESD_SD_EESD_SD_EENS9_6detail15normal_iteratorINS9_10device_ptrIiEEEESK_iNS9_4plusIvEENS9_8equal_toIvEEiEE10hipError_tPvRmT2_T3_T4_T5_mT6_T7_P12ihipStream_tbENKUlT_T0_E_clISt17integral_constantIbLb1EES14_IbLb0EEEEDaS10_S11_EUlS10_E_NS1_11comp_targetILNS1_3genE4ELNS1_11target_archE910ELNS1_3gpuE8ELNS1_3repE0EEENS1_30default_config_static_selectorELNS0_4arch9wavefront6targetE0EEEvT1_: ; @_ZN7rocprim17ROCPRIM_400000_NS6detail17trampoline_kernelINS0_14default_configENS1_27scan_by_key_config_selectorImiEEZZNS1_16scan_by_key_implILNS1_25lookback_scan_determinismE0ELb0ES3_N6thrust23THRUST_200600_302600_NS18transform_iteratorI9row_indexNS9_17counting_iteratorImNS9_11use_defaultESD_SD_EESD_SD_EENS9_6detail15normal_iteratorINS9_10device_ptrIiEEEESK_iNS9_4plusIvEENS9_8equal_toIvEEiEE10hipError_tPvRmT2_T3_T4_T5_mT6_T7_P12ihipStream_tbENKUlT_T0_E_clISt17integral_constantIbLb1EES14_IbLb0EEEEDaS10_S11_EUlS10_E_NS1_11comp_targetILNS1_3genE4ELNS1_11target_archE910ELNS1_3gpuE8ELNS1_3repE0EEENS1_30default_config_static_selectorELNS0_4arch9wavefront6targetE0EEEvT1_
; %bb.0:
	.section	.rodata,"a",@progbits
	.p2align	6, 0x0
	.amdhsa_kernel _ZN7rocprim17ROCPRIM_400000_NS6detail17trampoline_kernelINS0_14default_configENS1_27scan_by_key_config_selectorImiEEZZNS1_16scan_by_key_implILNS1_25lookback_scan_determinismE0ELb0ES3_N6thrust23THRUST_200600_302600_NS18transform_iteratorI9row_indexNS9_17counting_iteratorImNS9_11use_defaultESD_SD_EESD_SD_EENS9_6detail15normal_iteratorINS9_10device_ptrIiEEEESK_iNS9_4plusIvEENS9_8equal_toIvEEiEE10hipError_tPvRmT2_T3_T4_T5_mT6_T7_P12ihipStream_tbENKUlT_T0_E_clISt17integral_constantIbLb1EES14_IbLb0EEEEDaS10_S11_EUlS10_E_NS1_11comp_targetILNS1_3genE4ELNS1_11target_archE910ELNS1_3gpuE8ELNS1_3repE0EEENS1_30default_config_static_selectorELNS0_4arch9wavefront6targetE0EEEvT1_
		.amdhsa_group_segment_fixed_size 0
		.amdhsa_private_segment_fixed_size 0
		.amdhsa_kernarg_size 120
		.amdhsa_user_sgpr_count 6
		.amdhsa_user_sgpr_private_segment_buffer 1
		.amdhsa_user_sgpr_dispatch_ptr 0
		.amdhsa_user_sgpr_queue_ptr 0
		.amdhsa_user_sgpr_kernarg_segment_ptr 1
		.amdhsa_user_sgpr_dispatch_id 0
		.amdhsa_user_sgpr_flat_scratch_init 0
		.amdhsa_user_sgpr_private_segment_size 0
		.amdhsa_wavefront_size32 1
		.amdhsa_uses_dynamic_stack 0
		.amdhsa_system_sgpr_private_segment_wavefront_offset 0
		.amdhsa_system_sgpr_workgroup_id_x 1
		.amdhsa_system_sgpr_workgroup_id_y 0
		.amdhsa_system_sgpr_workgroup_id_z 0
		.amdhsa_system_sgpr_workgroup_info 0
		.amdhsa_system_vgpr_workitem_id 0
		.amdhsa_next_free_vgpr 1
		.amdhsa_next_free_sgpr 1
		.amdhsa_reserve_vcc 0
		.amdhsa_reserve_flat_scratch 0
		.amdhsa_float_round_mode_32 0
		.amdhsa_float_round_mode_16_64 0
		.amdhsa_float_denorm_mode_32 3
		.amdhsa_float_denorm_mode_16_64 3
		.amdhsa_dx10_clamp 1
		.amdhsa_ieee_mode 1
		.amdhsa_fp16_overflow 0
		.amdhsa_workgroup_processor_mode 1
		.amdhsa_memory_ordered 1
		.amdhsa_forward_progress 1
		.amdhsa_shared_vgpr_count 0
		.amdhsa_exception_fp_ieee_invalid_op 0
		.amdhsa_exception_fp_denorm_src 0
		.amdhsa_exception_fp_ieee_div_zero 0
		.amdhsa_exception_fp_ieee_overflow 0
		.amdhsa_exception_fp_ieee_underflow 0
		.amdhsa_exception_fp_ieee_inexact 0
		.amdhsa_exception_int_div_zero 0
	.end_amdhsa_kernel
	.section	.text._ZN7rocprim17ROCPRIM_400000_NS6detail17trampoline_kernelINS0_14default_configENS1_27scan_by_key_config_selectorImiEEZZNS1_16scan_by_key_implILNS1_25lookback_scan_determinismE0ELb0ES3_N6thrust23THRUST_200600_302600_NS18transform_iteratorI9row_indexNS9_17counting_iteratorImNS9_11use_defaultESD_SD_EESD_SD_EENS9_6detail15normal_iteratorINS9_10device_ptrIiEEEESK_iNS9_4plusIvEENS9_8equal_toIvEEiEE10hipError_tPvRmT2_T3_T4_T5_mT6_T7_P12ihipStream_tbENKUlT_T0_E_clISt17integral_constantIbLb1EES14_IbLb0EEEEDaS10_S11_EUlS10_E_NS1_11comp_targetILNS1_3genE4ELNS1_11target_archE910ELNS1_3gpuE8ELNS1_3repE0EEENS1_30default_config_static_selectorELNS0_4arch9wavefront6targetE0EEEvT1_,"axG",@progbits,_ZN7rocprim17ROCPRIM_400000_NS6detail17trampoline_kernelINS0_14default_configENS1_27scan_by_key_config_selectorImiEEZZNS1_16scan_by_key_implILNS1_25lookback_scan_determinismE0ELb0ES3_N6thrust23THRUST_200600_302600_NS18transform_iteratorI9row_indexNS9_17counting_iteratorImNS9_11use_defaultESD_SD_EESD_SD_EENS9_6detail15normal_iteratorINS9_10device_ptrIiEEEESK_iNS9_4plusIvEENS9_8equal_toIvEEiEE10hipError_tPvRmT2_T3_T4_T5_mT6_T7_P12ihipStream_tbENKUlT_T0_E_clISt17integral_constantIbLb1EES14_IbLb0EEEEDaS10_S11_EUlS10_E_NS1_11comp_targetILNS1_3genE4ELNS1_11target_archE910ELNS1_3gpuE8ELNS1_3repE0EEENS1_30default_config_static_selectorELNS0_4arch9wavefront6targetE0EEEvT1_,comdat
.Lfunc_end28:
	.size	_ZN7rocprim17ROCPRIM_400000_NS6detail17trampoline_kernelINS0_14default_configENS1_27scan_by_key_config_selectorImiEEZZNS1_16scan_by_key_implILNS1_25lookback_scan_determinismE0ELb0ES3_N6thrust23THRUST_200600_302600_NS18transform_iteratorI9row_indexNS9_17counting_iteratorImNS9_11use_defaultESD_SD_EESD_SD_EENS9_6detail15normal_iteratorINS9_10device_ptrIiEEEESK_iNS9_4plusIvEENS9_8equal_toIvEEiEE10hipError_tPvRmT2_T3_T4_T5_mT6_T7_P12ihipStream_tbENKUlT_T0_E_clISt17integral_constantIbLb1EES14_IbLb0EEEEDaS10_S11_EUlS10_E_NS1_11comp_targetILNS1_3genE4ELNS1_11target_archE910ELNS1_3gpuE8ELNS1_3repE0EEENS1_30default_config_static_selectorELNS0_4arch9wavefront6targetE0EEEvT1_, .Lfunc_end28-_ZN7rocprim17ROCPRIM_400000_NS6detail17trampoline_kernelINS0_14default_configENS1_27scan_by_key_config_selectorImiEEZZNS1_16scan_by_key_implILNS1_25lookback_scan_determinismE0ELb0ES3_N6thrust23THRUST_200600_302600_NS18transform_iteratorI9row_indexNS9_17counting_iteratorImNS9_11use_defaultESD_SD_EESD_SD_EENS9_6detail15normal_iteratorINS9_10device_ptrIiEEEESK_iNS9_4plusIvEENS9_8equal_toIvEEiEE10hipError_tPvRmT2_T3_T4_T5_mT6_T7_P12ihipStream_tbENKUlT_T0_E_clISt17integral_constantIbLb1EES14_IbLb0EEEEDaS10_S11_EUlS10_E_NS1_11comp_targetILNS1_3genE4ELNS1_11target_archE910ELNS1_3gpuE8ELNS1_3repE0EEENS1_30default_config_static_selectorELNS0_4arch9wavefront6targetE0EEEvT1_
                                        ; -- End function
	.set _ZN7rocprim17ROCPRIM_400000_NS6detail17trampoline_kernelINS0_14default_configENS1_27scan_by_key_config_selectorImiEEZZNS1_16scan_by_key_implILNS1_25lookback_scan_determinismE0ELb0ES3_N6thrust23THRUST_200600_302600_NS18transform_iteratorI9row_indexNS9_17counting_iteratorImNS9_11use_defaultESD_SD_EESD_SD_EENS9_6detail15normal_iteratorINS9_10device_ptrIiEEEESK_iNS9_4plusIvEENS9_8equal_toIvEEiEE10hipError_tPvRmT2_T3_T4_T5_mT6_T7_P12ihipStream_tbENKUlT_T0_E_clISt17integral_constantIbLb1EES14_IbLb0EEEEDaS10_S11_EUlS10_E_NS1_11comp_targetILNS1_3genE4ELNS1_11target_archE910ELNS1_3gpuE8ELNS1_3repE0EEENS1_30default_config_static_selectorELNS0_4arch9wavefront6targetE0EEEvT1_.num_vgpr, 0
	.set _ZN7rocprim17ROCPRIM_400000_NS6detail17trampoline_kernelINS0_14default_configENS1_27scan_by_key_config_selectorImiEEZZNS1_16scan_by_key_implILNS1_25lookback_scan_determinismE0ELb0ES3_N6thrust23THRUST_200600_302600_NS18transform_iteratorI9row_indexNS9_17counting_iteratorImNS9_11use_defaultESD_SD_EESD_SD_EENS9_6detail15normal_iteratorINS9_10device_ptrIiEEEESK_iNS9_4plusIvEENS9_8equal_toIvEEiEE10hipError_tPvRmT2_T3_T4_T5_mT6_T7_P12ihipStream_tbENKUlT_T0_E_clISt17integral_constantIbLb1EES14_IbLb0EEEEDaS10_S11_EUlS10_E_NS1_11comp_targetILNS1_3genE4ELNS1_11target_archE910ELNS1_3gpuE8ELNS1_3repE0EEENS1_30default_config_static_selectorELNS0_4arch9wavefront6targetE0EEEvT1_.num_agpr, 0
	.set _ZN7rocprim17ROCPRIM_400000_NS6detail17trampoline_kernelINS0_14default_configENS1_27scan_by_key_config_selectorImiEEZZNS1_16scan_by_key_implILNS1_25lookback_scan_determinismE0ELb0ES3_N6thrust23THRUST_200600_302600_NS18transform_iteratorI9row_indexNS9_17counting_iteratorImNS9_11use_defaultESD_SD_EESD_SD_EENS9_6detail15normal_iteratorINS9_10device_ptrIiEEEESK_iNS9_4plusIvEENS9_8equal_toIvEEiEE10hipError_tPvRmT2_T3_T4_T5_mT6_T7_P12ihipStream_tbENKUlT_T0_E_clISt17integral_constantIbLb1EES14_IbLb0EEEEDaS10_S11_EUlS10_E_NS1_11comp_targetILNS1_3genE4ELNS1_11target_archE910ELNS1_3gpuE8ELNS1_3repE0EEENS1_30default_config_static_selectorELNS0_4arch9wavefront6targetE0EEEvT1_.numbered_sgpr, 0
	.set _ZN7rocprim17ROCPRIM_400000_NS6detail17trampoline_kernelINS0_14default_configENS1_27scan_by_key_config_selectorImiEEZZNS1_16scan_by_key_implILNS1_25lookback_scan_determinismE0ELb0ES3_N6thrust23THRUST_200600_302600_NS18transform_iteratorI9row_indexNS9_17counting_iteratorImNS9_11use_defaultESD_SD_EESD_SD_EENS9_6detail15normal_iteratorINS9_10device_ptrIiEEEESK_iNS9_4plusIvEENS9_8equal_toIvEEiEE10hipError_tPvRmT2_T3_T4_T5_mT6_T7_P12ihipStream_tbENKUlT_T0_E_clISt17integral_constantIbLb1EES14_IbLb0EEEEDaS10_S11_EUlS10_E_NS1_11comp_targetILNS1_3genE4ELNS1_11target_archE910ELNS1_3gpuE8ELNS1_3repE0EEENS1_30default_config_static_selectorELNS0_4arch9wavefront6targetE0EEEvT1_.num_named_barrier, 0
	.set _ZN7rocprim17ROCPRIM_400000_NS6detail17trampoline_kernelINS0_14default_configENS1_27scan_by_key_config_selectorImiEEZZNS1_16scan_by_key_implILNS1_25lookback_scan_determinismE0ELb0ES3_N6thrust23THRUST_200600_302600_NS18transform_iteratorI9row_indexNS9_17counting_iteratorImNS9_11use_defaultESD_SD_EESD_SD_EENS9_6detail15normal_iteratorINS9_10device_ptrIiEEEESK_iNS9_4plusIvEENS9_8equal_toIvEEiEE10hipError_tPvRmT2_T3_T4_T5_mT6_T7_P12ihipStream_tbENKUlT_T0_E_clISt17integral_constantIbLb1EES14_IbLb0EEEEDaS10_S11_EUlS10_E_NS1_11comp_targetILNS1_3genE4ELNS1_11target_archE910ELNS1_3gpuE8ELNS1_3repE0EEENS1_30default_config_static_selectorELNS0_4arch9wavefront6targetE0EEEvT1_.private_seg_size, 0
	.set _ZN7rocprim17ROCPRIM_400000_NS6detail17trampoline_kernelINS0_14default_configENS1_27scan_by_key_config_selectorImiEEZZNS1_16scan_by_key_implILNS1_25lookback_scan_determinismE0ELb0ES3_N6thrust23THRUST_200600_302600_NS18transform_iteratorI9row_indexNS9_17counting_iteratorImNS9_11use_defaultESD_SD_EESD_SD_EENS9_6detail15normal_iteratorINS9_10device_ptrIiEEEESK_iNS9_4plusIvEENS9_8equal_toIvEEiEE10hipError_tPvRmT2_T3_T4_T5_mT6_T7_P12ihipStream_tbENKUlT_T0_E_clISt17integral_constantIbLb1EES14_IbLb0EEEEDaS10_S11_EUlS10_E_NS1_11comp_targetILNS1_3genE4ELNS1_11target_archE910ELNS1_3gpuE8ELNS1_3repE0EEENS1_30default_config_static_selectorELNS0_4arch9wavefront6targetE0EEEvT1_.uses_vcc, 0
	.set _ZN7rocprim17ROCPRIM_400000_NS6detail17trampoline_kernelINS0_14default_configENS1_27scan_by_key_config_selectorImiEEZZNS1_16scan_by_key_implILNS1_25lookback_scan_determinismE0ELb0ES3_N6thrust23THRUST_200600_302600_NS18transform_iteratorI9row_indexNS9_17counting_iteratorImNS9_11use_defaultESD_SD_EESD_SD_EENS9_6detail15normal_iteratorINS9_10device_ptrIiEEEESK_iNS9_4plusIvEENS9_8equal_toIvEEiEE10hipError_tPvRmT2_T3_T4_T5_mT6_T7_P12ihipStream_tbENKUlT_T0_E_clISt17integral_constantIbLb1EES14_IbLb0EEEEDaS10_S11_EUlS10_E_NS1_11comp_targetILNS1_3genE4ELNS1_11target_archE910ELNS1_3gpuE8ELNS1_3repE0EEENS1_30default_config_static_selectorELNS0_4arch9wavefront6targetE0EEEvT1_.uses_flat_scratch, 0
	.set _ZN7rocprim17ROCPRIM_400000_NS6detail17trampoline_kernelINS0_14default_configENS1_27scan_by_key_config_selectorImiEEZZNS1_16scan_by_key_implILNS1_25lookback_scan_determinismE0ELb0ES3_N6thrust23THRUST_200600_302600_NS18transform_iteratorI9row_indexNS9_17counting_iteratorImNS9_11use_defaultESD_SD_EESD_SD_EENS9_6detail15normal_iteratorINS9_10device_ptrIiEEEESK_iNS9_4plusIvEENS9_8equal_toIvEEiEE10hipError_tPvRmT2_T3_T4_T5_mT6_T7_P12ihipStream_tbENKUlT_T0_E_clISt17integral_constantIbLb1EES14_IbLb0EEEEDaS10_S11_EUlS10_E_NS1_11comp_targetILNS1_3genE4ELNS1_11target_archE910ELNS1_3gpuE8ELNS1_3repE0EEENS1_30default_config_static_selectorELNS0_4arch9wavefront6targetE0EEEvT1_.has_dyn_sized_stack, 0
	.set _ZN7rocprim17ROCPRIM_400000_NS6detail17trampoline_kernelINS0_14default_configENS1_27scan_by_key_config_selectorImiEEZZNS1_16scan_by_key_implILNS1_25lookback_scan_determinismE0ELb0ES3_N6thrust23THRUST_200600_302600_NS18transform_iteratorI9row_indexNS9_17counting_iteratorImNS9_11use_defaultESD_SD_EESD_SD_EENS9_6detail15normal_iteratorINS9_10device_ptrIiEEEESK_iNS9_4plusIvEENS9_8equal_toIvEEiEE10hipError_tPvRmT2_T3_T4_T5_mT6_T7_P12ihipStream_tbENKUlT_T0_E_clISt17integral_constantIbLb1EES14_IbLb0EEEEDaS10_S11_EUlS10_E_NS1_11comp_targetILNS1_3genE4ELNS1_11target_archE910ELNS1_3gpuE8ELNS1_3repE0EEENS1_30default_config_static_selectorELNS0_4arch9wavefront6targetE0EEEvT1_.has_recursion, 0
	.set _ZN7rocprim17ROCPRIM_400000_NS6detail17trampoline_kernelINS0_14default_configENS1_27scan_by_key_config_selectorImiEEZZNS1_16scan_by_key_implILNS1_25lookback_scan_determinismE0ELb0ES3_N6thrust23THRUST_200600_302600_NS18transform_iteratorI9row_indexNS9_17counting_iteratorImNS9_11use_defaultESD_SD_EESD_SD_EENS9_6detail15normal_iteratorINS9_10device_ptrIiEEEESK_iNS9_4plusIvEENS9_8equal_toIvEEiEE10hipError_tPvRmT2_T3_T4_T5_mT6_T7_P12ihipStream_tbENKUlT_T0_E_clISt17integral_constantIbLb1EES14_IbLb0EEEEDaS10_S11_EUlS10_E_NS1_11comp_targetILNS1_3genE4ELNS1_11target_archE910ELNS1_3gpuE8ELNS1_3repE0EEENS1_30default_config_static_selectorELNS0_4arch9wavefront6targetE0EEEvT1_.has_indirect_call, 0
	.section	.AMDGPU.csdata,"",@progbits
; Kernel info:
; codeLenInByte = 0
; TotalNumSgprs: 0
; NumVgprs: 0
; ScratchSize: 0
; MemoryBound: 0
; FloatMode: 240
; IeeeMode: 1
; LDSByteSize: 0 bytes/workgroup (compile time only)
; SGPRBlocks: 0
; VGPRBlocks: 0
; NumSGPRsForWavesPerEU: 1
; NumVGPRsForWavesPerEU: 1
; Occupancy: 16
; WaveLimiterHint : 0
; COMPUTE_PGM_RSRC2:SCRATCH_EN: 0
; COMPUTE_PGM_RSRC2:USER_SGPR: 6
; COMPUTE_PGM_RSRC2:TRAP_HANDLER: 0
; COMPUTE_PGM_RSRC2:TGID_X_EN: 1
; COMPUTE_PGM_RSRC2:TGID_Y_EN: 0
; COMPUTE_PGM_RSRC2:TGID_Z_EN: 0
; COMPUTE_PGM_RSRC2:TIDIG_COMP_CNT: 0
	.section	.text._ZN7rocprim17ROCPRIM_400000_NS6detail17trampoline_kernelINS0_14default_configENS1_27scan_by_key_config_selectorImiEEZZNS1_16scan_by_key_implILNS1_25lookback_scan_determinismE0ELb0ES3_N6thrust23THRUST_200600_302600_NS18transform_iteratorI9row_indexNS9_17counting_iteratorImNS9_11use_defaultESD_SD_EESD_SD_EENS9_6detail15normal_iteratorINS9_10device_ptrIiEEEESK_iNS9_4plusIvEENS9_8equal_toIvEEiEE10hipError_tPvRmT2_T3_T4_T5_mT6_T7_P12ihipStream_tbENKUlT_T0_E_clISt17integral_constantIbLb1EES14_IbLb0EEEEDaS10_S11_EUlS10_E_NS1_11comp_targetILNS1_3genE3ELNS1_11target_archE908ELNS1_3gpuE7ELNS1_3repE0EEENS1_30default_config_static_selectorELNS0_4arch9wavefront6targetE0EEEvT1_,"axG",@progbits,_ZN7rocprim17ROCPRIM_400000_NS6detail17trampoline_kernelINS0_14default_configENS1_27scan_by_key_config_selectorImiEEZZNS1_16scan_by_key_implILNS1_25lookback_scan_determinismE0ELb0ES3_N6thrust23THRUST_200600_302600_NS18transform_iteratorI9row_indexNS9_17counting_iteratorImNS9_11use_defaultESD_SD_EESD_SD_EENS9_6detail15normal_iteratorINS9_10device_ptrIiEEEESK_iNS9_4plusIvEENS9_8equal_toIvEEiEE10hipError_tPvRmT2_T3_T4_T5_mT6_T7_P12ihipStream_tbENKUlT_T0_E_clISt17integral_constantIbLb1EES14_IbLb0EEEEDaS10_S11_EUlS10_E_NS1_11comp_targetILNS1_3genE3ELNS1_11target_archE908ELNS1_3gpuE7ELNS1_3repE0EEENS1_30default_config_static_selectorELNS0_4arch9wavefront6targetE0EEEvT1_,comdat
	.protected	_ZN7rocprim17ROCPRIM_400000_NS6detail17trampoline_kernelINS0_14default_configENS1_27scan_by_key_config_selectorImiEEZZNS1_16scan_by_key_implILNS1_25lookback_scan_determinismE0ELb0ES3_N6thrust23THRUST_200600_302600_NS18transform_iteratorI9row_indexNS9_17counting_iteratorImNS9_11use_defaultESD_SD_EESD_SD_EENS9_6detail15normal_iteratorINS9_10device_ptrIiEEEESK_iNS9_4plusIvEENS9_8equal_toIvEEiEE10hipError_tPvRmT2_T3_T4_T5_mT6_T7_P12ihipStream_tbENKUlT_T0_E_clISt17integral_constantIbLb1EES14_IbLb0EEEEDaS10_S11_EUlS10_E_NS1_11comp_targetILNS1_3genE3ELNS1_11target_archE908ELNS1_3gpuE7ELNS1_3repE0EEENS1_30default_config_static_selectorELNS0_4arch9wavefront6targetE0EEEvT1_ ; -- Begin function _ZN7rocprim17ROCPRIM_400000_NS6detail17trampoline_kernelINS0_14default_configENS1_27scan_by_key_config_selectorImiEEZZNS1_16scan_by_key_implILNS1_25lookback_scan_determinismE0ELb0ES3_N6thrust23THRUST_200600_302600_NS18transform_iteratorI9row_indexNS9_17counting_iteratorImNS9_11use_defaultESD_SD_EESD_SD_EENS9_6detail15normal_iteratorINS9_10device_ptrIiEEEESK_iNS9_4plusIvEENS9_8equal_toIvEEiEE10hipError_tPvRmT2_T3_T4_T5_mT6_T7_P12ihipStream_tbENKUlT_T0_E_clISt17integral_constantIbLb1EES14_IbLb0EEEEDaS10_S11_EUlS10_E_NS1_11comp_targetILNS1_3genE3ELNS1_11target_archE908ELNS1_3gpuE7ELNS1_3repE0EEENS1_30default_config_static_selectorELNS0_4arch9wavefront6targetE0EEEvT1_
	.globl	_ZN7rocprim17ROCPRIM_400000_NS6detail17trampoline_kernelINS0_14default_configENS1_27scan_by_key_config_selectorImiEEZZNS1_16scan_by_key_implILNS1_25lookback_scan_determinismE0ELb0ES3_N6thrust23THRUST_200600_302600_NS18transform_iteratorI9row_indexNS9_17counting_iteratorImNS9_11use_defaultESD_SD_EESD_SD_EENS9_6detail15normal_iteratorINS9_10device_ptrIiEEEESK_iNS9_4plusIvEENS9_8equal_toIvEEiEE10hipError_tPvRmT2_T3_T4_T5_mT6_T7_P12ihipStream_tbENKUlT_T0_E_clISt17integral_constantIbLb1EES14_IbLb0EEEEDaS10_S11_EUlS10_E_NS1_11comp_targetILNS1_3genE3ELNS1_11target_archE908ELNS1_3gpuE7ELNS1_3repE0EEENS1_30default_config_static_selectorELNS0_4arch9wavefront6targetE0EEEvT1_
	.p2align	8
	.type	_ZN7rocprim17ROCPRIM_400000_NS6detail17trampoline_kernelINS0_14default_configENS1_27scan_by_key_config_selectorImiEEZZNS1_16scan_by_key_implILNS1_25lookback_scan_determinismE0ELb0ES3_N6thrust23THRUST_200600_302600_NS18transform_iteratorI9row_indexNS9_17counting_iteratorImNS9_11use_defaultESD_SD_EESD_SD_EENS9_6detail15normal_iteratorINS9_10device_ptrIiEEEESK_iNS9_4plusIvEENS9_8equal_toIvEEiEE10hipError_tPvRmT2_T3_T4_T5_mT6_T7_P12ihipStream_tbENKUlT_T0_E_clISt17integral_constantIbLb1EES14_IbLb0EEEEDaS10_S11_EUlS10_E_NS1_11comp_targetILNS1_3genE3ELNS1_11target_archE908ELNS1_3gpuE7ELNS1_3repE0EEENS1_30default_config_static_selectorELNS0_4arch9wavefront6targetE0EEEvT1_,@function
_ZN7rocprim17ROCPRIM_400000_NS6detail17trampoline_kernelINS0_14default_configENS1_27scan_by_key_config_selectorImiEEZZNS1_16scan_by_key_implILNS1_25lookback_scan_determinismE0ELb0ES3_N6thrust23THRUST_200600_302600_NS18transform_iteratorI9row_indexNS9_17counting_iteratorImNS9_11use_defaultESD_SD_EESD_SD_EENS9_6detail15normal_iteratorINS9_10device_ptrIiEEEESK_iNS9_4plusIvEENS9_8equal_toIvEEiEE10hipError_tPvRmT2_T3_T4_T5_mT6_T7_P12ihipStream_tbENKUlT_T0_E_clISt17integral_constantIbLb1EES14_IbLb0EEEEDaS10_S11_EUlS10_E_NS1_11comp_targetILNS1_3genE3ELNS1_11target_archE908ELNS1_3gpuE7ELNS1_3repE0EEENS1_30default_config_static_selectorELNS0_4arch9wavefront6targetE0EEEvT1_: ; @_ZN7rocprim17ROCPRIM_400000_NS6detail17trampoline_kernelINS0_14default_configENS1_27scan_by_key_config_selectorImiEEZZNS1_16scan_by_key_implILNS1_25lookback_scan_determinismE0ELb0ES3_N6thrust23THRUST_200600_302600_NS18transform_iteratorI9row_indexNS9_17counting_iteratorImNS9_11use_defaultESD_SD_EESD_SD_EENS9_6detail15normal_iteratorINS9_10device_ptrIiEEEESK_iNS9_4plusIvEENS9_8equal_toIvEEiEE10hipError_tPvRmT2_T3_T4_T5_mT6_T7_P12ihipStream_tbENKUlT_T0_E_clISt17integral_constantIbLb1EES14_IbLb0EEEEDaS10_S11_EUlS10_E_NS1_11comp_targetILNS1_3genE3ELNS1_11target_archE908ELNS1_3gpuE7ELNS1_3repE0EEENS1_30default_config_static_selectorELNS0_4arch9wavefront6targetE0EEEvT1_
; %bb.0:
	.section	.rodata,"a",@progbits
	.p2align	6, 0x0
	.amdhsa_kernel _ZN7rocprim17ROCPRIM_400000_NS6detail17trampoline_kernelINS0_14default_configENS1_27scan_by_key_config_selectorImiEEZZNS1_16scan_by_key_implILNS1_25lookback_scan_determinismE0ELb0ES3_N6thrust23THRUST_200600_302600_NS18transform_iteratorI9row_indexNS9_17counting_iteratorImNS9_11use_defaultESD_SD_EESD_SD_EENS9_6detail15normal_iteratorINS9_10device_ptrIiEEEESK_iNS9_4plusIvEENS9_8equal_toIvEEiEE10hipError_tPvRmT2_T3_T4_T5_mT6_T7_P12ihipStream_tbENKUlT_T0_E_clISt17integral_constantIbLb1EES14_IbLb0EEEEDaS10_S11_EUlS10_E_NS1_11comp_targetILNS1_3genE3ELNS1_11target_archE908ELNS1_3gpuE7ELNS1_3repE0EEENS1_30default_config_static_selectorELNS0_4arch9wavefront6targetE0EEEvT1_
		.amdhsa_group_segment_fixed_size 0
		.amdhsa_private_segment_fixed_size 0
		.amdhsa_kernarg_size 120
		.amdhsa_user_sgpr_count 6
		.amdhsa_user_sgpr_private_segment_buffer 1
		.amdhsa_user_sgpr_dispatch_ptr 0
		.amdhsa_user_sgpr_queue_ptr 0
		.amdhsa_user_sgpr_kernarg_segment_ptr 1
		.amdhsa_user_sgpr_dispatch_id 0
		.amdhsa_user_sgpr_flat_scratch_init 0
		.amdhsa_user_sgpr_private_segment_size 0
		.amdhsa_wavefront_size32 1
		.amdhsa_uses_dynamic_stack 0
		.amdhsa_system_sgpr_private_segment_wavefront_offset 0
		.amdhsa_system_sgpr_workgroup_id_x 1
		.amdhsa_system_sgpr_workgroup_id_y 0
		.amdhsa_system_sgpr_workgroup_id_z 0
		.amdhsa_system_sgpr_workgroup_info 0
		.amdhsa_system_vgpr_workitem_id 0
		.amdhsa_next_free_vgpr 1
		.amdhsa_next_free_sgpr 1
		.amdhsa_reserve_vcc 0
		.amdhsa_reserve_flat_scratch 0
		.amdhsa_float_round_mode_32 0
		.amdhsa_float_round_mode_16_64 0
		.amdhsa_float_denorm_mode_32 3
		.amdhsa_float_denorm_mode_16_64 3
		.amdhsa_dx10_clamp 1
		.amdhsa_ieee_mode 1
		.amdhsa_fp16_overflow 0
		.amdhsa_workgroup_processor_mode 1
		.amdhsa_memory_ordered 1
		.amdhsa_forward_progress 1
		.amdhsa_shared_vgpr_count 0
		.amdhsa_exception_fp_ieee_invalid_op 0
		.amdhsa_exception_fp_denorm_src 0
		.amdhsa_exception_fp_ieee_div_zero 0
		.amdhsa_exception_fp_ieee_overflow 0
		.amdhsa_exception_fp_ieee_underflow 0
		.amdhsa_exception_fp_ieee_inexact 0
		.amdhsa_exception_int_div_zero 0
	.end_amdhsa_kernel
	.section	.text._ZN7rocprim17ROCPRIM_400000_NS6detail17trampoline_kernelINS0_14default_configENS1_27scan_by_key_config_selectorImiEEZZNS1_16scan_by_key_implILNS1_25lookback_scan_determinismE0ELb0ES3_N6thrust23THRUST_200600_302600_NS18transform_iteratorI9row_indexNS9_17counting_iteratorImNS9_11use_defaultESD_SD_EESD_SD_EENS9_6detail15normal_iteratorINS9_10device_ptrIiEEEESK_iNS9_4plusIvEENS9_8equal_toIvEEiEE10hipError_tPvRmT2_T3_T4_T5_mT6_T7_P12ihipStream_tbENKUlT_T0_E_clISt17integral_constantIbLb1EES14_IbLb0EEEEDaS10_S11_EUlS10_E_NS1_11comp_targetILNS1_3genE3ELNS1_11target_archE908ELNS1_3gpuE7ELNS1_3repE0EEENS1_30default_config_static_selectorELNS0_4arch9wavefront6targetE0EEEvT1_,"axG",@progbits,_ZN7rocprim17ROCPRIM_400000_NS6detail17trampoline_kernelINS0_14default_configENS1_27scan_by_key_config_selectorImiEEZZNS1_16scan_by_key_implILNS1_25lookback_scan_determinismE0ELb0ES3_N6thrust23THRUST_200600_302600_NS18transform_iteratorI9row_indexNS9_17counting_iteratorImNS9_11use_defaultESD_SD_EESD_SD_EENS9_6detail15normal_iteratorINS9_10device_ptrIiEEEESK_iNS9_4plusIvEENS9_8equal_toIvEEiEE10hipError_tPvRmT2_T3_T4_T5_mT6_T7_P12ihipStream_tbENKUlT_T0_E_clISt17integral_constantIbLb1EES14_IbLb0EEEEDaS10_S11_EUlS10_E_NS1_11comp_targetILNS1_3genE3ELNS1_11target_archE908ELNS1_3gpuE7ELNS1_3repE0EEENS1_30default_config_static_selectorELNS0_4arch9wavefront6targetE0EEEvT1_,comdat
.Lfunc_end29:
	.size	_ZN7rocprim17ROCPRIM_400000_NS6detail17trampoline_kernelINS0_14default_configENS1_27scan_by_key_config_selectorImiEEZZNS1_16scan_by_key_implILNS1_25lookback_scan_determinismE0ELb0ES3_N6thrust23THRUST_200600_302600_NS18transform_iteratorI9row_indexNS9_17counting_iteratorImNS9_11use_defaultESD_SD_EESD_SD_EENS9_6detail15normal_iteratorINS9_10device_ptrIiEEEESK_iNS9_4plusIvEENS9_8equal_toIvEEiEE10hipError_tPvRmT2_T3_T4_T5_mT6_T7_P12ihipStream_tbENKUlT_T0_E_clISt17integral_constantIbLb1EES14_IbLb0EEEEDaS10_S11_EUlS10_E_NS1_11comp_targetILNS1_3genE3ELNS1_11target_archE908ELNS1_3gpuE7ELNS1_3repE0EEENS1_30default_config_static_selectorELNS0_4arch9wavefront6targetE0EEEvT1_, .Lfunc_end29-_ZN7rocprim17ROCPRIM_400000_NS6detail17trampoline_kernelINS0_14default_configENS1_27scan_by_key_config_selectorImiEEZZNS1_16scan_by_key_implILNS1_25lookback_scan_determinismE0ELb0ES3_N6thrust23THRUST_200600_302600_NS18transform_iteratorI9row_indexNS9_17counting_iteratorImNS9_11use_defaultESD_SD_EESD_SD_EENS9_6detail15normal_iteratorINS9_10device_ptrIiEEEESK_iNS9_4plusIvEENS9_8equal_toIvEEiEE10hipError_tPvRmT2_T3_T4_T5_mT6_T7_P12ihipStream_tbENKUlT_T0_E_clISt17integral_constantIbLb1EES14_IbLb0EEEEDaS10_S11_EUlS10_E_NS1_11comp_targetILNS1_3genE3ELNS1_11target_archE908ELNS1_3gpuE7ELNS1_3repE0EEENS1_30default_config_static_selectorELNS0_4arch9wavefront6targetE0EEEvT1_
                                        ; -- End function
	.set _ZN7rocprim17ROCPRIM_400000_NS6detail17trampoline_kernelINS0_14default_configENS1_27scan_by_key_config_selectorImiEEZZNS1_16scan_by_key_implILNS1_25lookback_scan_determinismE0ELb0ES3_N6thrust23THRUST_200600_302600_NS18transform_iteratorI9row_indexNS9_17counting_iteratorImNS9_11use_defaultESD_SD_EESD_SD_EENS9_6detail15normal_iteratorINS9_10device_ptrIiEEEESK_iNS9_4plusIvEENS9_8equal_toIvEEiEE10hipError_tPvRmT2_T3_T4_T5_mT6_T7_P12ihipStream_tbENKUlT_T0_E_clISt17integral_constantIbLb1EES14_IbLb0EEEEDaS10_S11_EUlS10_E_NS1_11comp_targetILNS1_3genE3ELNS1_11target_archE908ELNS1_3gpuE7ELNS1_3repE0EEENS1_30default_config_static_selectorELNS0_4arch9wavefront6targetE0EEEvT1_.num_vgpr, 0
	.set _ZN7rocprim17ROCPRIM_400000_NS6detail17trampoline_kernelINS0_14default_configENS1_27scan_by_key_config_selectorImiEEZZNS1_16scan_by_key_implILNS1_25lookback_scan_determinismE0ELb0ES3_N6thrust23THRUST_200600_302600_NS18transform_iteratorI9row_indexNS9_17counting_iteratorImNS9_11use_defaultESD_SD_EESD_SD_EENS9_6detail15normal_iteratorINS9_10device_ptrIiEEEESK_iNS9_4plusIvEENS9_8equal_toIvEEiEE10hipError_tPvRmT2_T3_T4_T5_mT6_T7_P12ihipStream_tbENKUlT_T0_E_clISt17integral_constantIbLb1EES14_IbLb0EEEEDaS10_S11_EUlS10_E_NS1_11comp_targetILNS1_3genE3ELNS1_11target_archE908ELNS1_3gpuE7ELNS1_3repE0EEENS1_30default_config_static_selectorELNS0_4arch9wavefront6targetE0EEEvT1_.num_agpr, 0
	.set _ZN7rocprim17ROCPRIM_400000_NS6detail17trampoline_kernelINS0_14default_configENS1_27scan_by_key_config_selectorImiEEZZNS1_16scan_by_key_implILNS1_25lookback_scan_determinismE0ELb0ES3_N6thrust23THRUST_200600_302600_NS18transform_iteratorI9row_indexNS9_17counting_iteratorImNS9_11use_defaultESD_SD_EESD_SD_EENS9_6detail15normal_iteratorINS9_10device_ptrIiEEEESK_iNS9_4plusIvEENS9_8equal_toIvEEiEE10hipError_tPvRmT2_T3_T4_T5_mT6_T7_P12ihipStream_tbENKUlT_T0_E_clISt17integral_constantIbLb1EES14_IbLb0EEEEDaS10_S11_EUlS10_E_NS1_11comp_targetILNS1_3genE3ELNS1_11target_archE908ELNS1_3gpuE7ELNS1_3repE0EEENS1_30default_config_static_selectorELNS0_4arch9wavefront6targetE0EEEvT1_.numbered_sgpr, 0
	.set _ZN7rocprim17ROCPRIM_400000_NS6detail17trampoline_kernelINS0_14default_configENS1_27scan_by_key_config_selectorImiEEZZNS1_16scan_by_key_implILNS1_25lookback_scan_determinismE0ELb0ES3_N6thrust23THRUST_200600_302600_NS18transform_iteratorI9row_indexNS9_17counting_iteratorImNS9_11use_defaultESD_SD_EESD_SD_EENS9_6detail15normal_iteratorINS9_10device_ptrIiEEEESK_iNS9_4plusIvEENS9_8equal_toIvEEiEE10hipError_tPvRmT2_T3_T4_T5_mT6_T7_P12ihipStream_tbENKUlT_T0_E_clISt17integral_constantIbLb1EES14_IbLb0EEEEDaS10_S11_EUlS10_E_NS1_11comp_targetILNS1_3genE3ELNS1_11target_archE908ELNS1_3gpuE7ELNS1_3repE0EEENS1_30default_config_static_selectorELNS0_4arch9wavefront6targetE0EEEvT1_.num_named_barrier, 0
	.set _ZN7rocprim17ROCPRIM_400000_NS6detail17trampoline_kernelINS0_14default_configENS1_27scan_by_key_config_selectorImiEEZZNS1_16scan_by_key_implILNS1_25lookback_scan_determinismE0ELb0ES3_N6thrust23THRUST_200600_302600_NS18transform_iteratorI9row_indexNS9_17counting_iteratorImNS9_11use_defaultESD_SD_EESD_SD_EENS9_6detail15normal_iteratorINS9_10device_ptrIiEEEESK_iNS9_4plusIvEENS9_8equal_toIvEEiEE10hipError_tPvRmT2_T3_T4_T5_mT6_T7_P12ihipStream_tbENKUlT_T0_E_clISt17integral_constantIbLb1EES14_IbLb0EEEEDaS10_S11_EUlS10_E_NS1_11comp_targetILNS1_3genE3ELNS1_11target_archE908ELNS1_3gpuE7ELNS1_3repE0EEENS1_30default_config_static_selectorELNS0_4arch9wavefront6targetE0EEEvT1_.private_seg_size, 0
	.set _ZN7rocprim17ROCPRIM_400000_NS6detail17trampoline_kernelINS0_14default_configENS1_27scan_by_key_config_selectorImiEEZZNS1_16scan_by_key_implILNS1_25lookback_scan_determinismE0ELb0ES3_N6thrust23THRUST_200600_302600_NS18transform_iteratorI9row_indexNS9_17counting_iteratorImNS9_11use_defaultESD_SD_EESD_SD_EENS9_6detail15normal_iteratorINS9_10device_ptrIiEEEESK_iNS9_4plusIvEENS9_8equal_toIvEEiEE10hipError_tPvRmT2_T3_T4_T5_mT6_T7_P12ihipStream_tbENKUlT_T0_E_clISt17integral_constantIbLb1EES14_IbLb0EEEEDaS10_S11_EUlS10_E_NS1_11comp_targetILNS1_3genE3ELNS1_11target_archE908ELNS1_3gpuE7ELNS1_3repE0EEENS1_30default_config_static_selectorELNS0_4arch9wavefront6targetE0EEEvT1_.uses_vcc, 0
	.set _ZN7rocprim17ROCPRIM_400000_NS6detail17trampoline_kernelINS0_14default_configENS1_27scan_by_key_config_selectorImiEEZZNS1_16scan_by_key_implILNS1_25lookback_scan_determinismE0ELb0ES3_N6thrust23THRUST_200600_302600_NS18transform_iteratorI9row_indexNS9_17counting_iteratorImNS9_11use_defaultESD_SD_EESD_SD_EENS9_6detail15normal_iteratorINS9_10device_ptrIiEEEESK_iNS9_4plusIvEENS9_8equal_toIvEEiEE10hipError_tPvRmT2_T3_T4_T5_mT6_T7_P12ihipStream_tbENKUlT_T0_E_clISt17integral_constantIbLb1EES14_IbLb0EEEEDaS10_S11_EUlS10_E_NS1_11comp_targetILNS1_3genE3ELNS1_11target_archE908ELNS1_3gpuE7ELNS1_3repE0EEENS1_30default_config_static_selectorELNS0_4arch9wavefront6targetE0EEEvT1_.uses_flat_scratch, 0
	.set _ZN7rocprim17ROCPRIM_400000_NS6detail17trampoline_kernelINS0_14default_configENS1_27scan_by_key_config_selectorImiEEZZNS1_16scan_by_key_implILNS1_25lookback_scan_determinismE0ELb0ES3_N6thrust23THRUST_200600_302600_NS18transform_iteratorI9row_indexNS9_17counting_iteratorImNS9_11use_defaultESD_SD_EESD_SD_EENS9_6detail15normal_iteratorINS9_10device_ptrIiEEEESK_iNS9_4plusIvEENS9_8equal_toIvEEiEE10hipError_tPvRmT2_T3_T4_T5_mT6_T7_P12ihipStream_tbENKUlT_T0_E_clISt17integral_constantIbLb1EES14_IbLb0EEEEDaS10_S11_EUlS10_E_NS1_11comp_targetILNS1_3genE3ELNS1_11target_archE908ELNS1_3gpuE7ELNS1_3repE0EEENS1_30default_config_static_selectorELNS0_4arch9wavefront6targetE0EEEvT1_.has_dyn_sized_stack, 0
	.set _ZN7rocprim17ROCPRIM_400000_NS6detail17trampoline_kernelINS0_14default_configENS1_27scan_by_key_config_selectorImiEEZZNS1_16scan_by_key_implILNS1_25lookback_scan_determinismE0ELb0ES3_N6thrust23THRUST_200600_302600_NS18transform_iteratorI9row_indexNS9_17counting_iteratorImNS9_11use_defaultESD_SD_EESD_SD_EENS9_6detail15normal_iteratorINS9_10device_ptrIiEEEESK_iNS9_4plusIvEENS9_8equal_toIvEEiEE10hipError_tPvRmT2_T3_T4_T5_mT6_T7_P12ihipStream_tbENKUlT_T0_E_clISt17integral_constantIbLb1EES14_IbLb0EEEEDaS10_S11_EUlS10_E_NS1_11comp_targetILNS1_3genE3ELNS1_11target_archE908ELNS1_3gpuE7ELNS1_3repE0EEENS1_30default_config_static_selectorELNS0_4arch9wavefront6targetE0EEEvT1_.has_recursion, 0
	.set _ZN7rocprim17ROCPRIM_400000_NS6detail17trampoline_kernelINS0_14default_configENS1_27scan_by_key_config_selectorImiEEZZNS1_16scan_by_key_implILNS1_25lookback_scan_determinismE0ELb0ES3_N6thrust23THRUST_200600_302600_NS18transform_iteratorI9row_indexNS9_17counting_iteratorImNS9_11use_defaultESD_SD_EESD_SD_EENS9_6detail15normal_iteratorINS9_10device_ptrIiEEEESK_iNS9_4plusIvEENS9_8equal_toIvEEiEE10hipError_tPvRmT2_T3_T4_T5_mT6_T7_P12ihipStream_tbENKUlT_T0_E_clISt17integral_constantIbLb1EES14_IbLb0EEEEDaS10_S11_EUlS10_E_NS1_11comp_targetILNS1_3genE3ELNS1_11target_archE908ELNS1_3gpuE7ELNS1_3repE0EEENS1_30default_config_static_selectorELNS0_4arch9wavefront6targetE0EEEvT1_.has_indirect_call, 0
	.section	.AMDGPU.csdata,"",@progbits
; Kernel info:
; codeLenInByte = 0
; TotalNumSgprs: 0
; NumVgprs: 0
; ScratchSize: 0
; MemoryBound: 0
; FloatMode: 240
; IeeeMode: 1
; LDSByteSize: 0 bytes/workgroup (compile time only)
; SGPRBlocks: 0
; VGPRBlocks: 0
; NumSGPRsForWavesPerEU: 1
; NumVGPRsForWavesPerEU: 1
; Occupancy: 16
; WaveLimiterHint : 0
; COMPUTE_PGM_RSRC2:SCRATCH_EN: 0
; COMPUTE_PGM_RSRC2:USER_SGPR: 6
; COMPUTE_PGM_RSRC2:TRAP_HANDLER: 0
; COMPUTE_PGM_RSRC2:TGID_X_EN: 1
; COMPUTE_PGM_RSRC2:TGID_Y_EN: 0
; COMPUTE_PGM_RSRC2:TGID_Z_EN: 0
; COMPUTE_PGM_RSRC2:TIDIG_COMP_CNT: 0
	.section	.text._ZN7rocprim17ROCPRIM_400000_NS6detail17trampoline_kernelINS0_14default_configENS1_27scan_by_key_config_selectorImiEEZZNS1_16scan_by_key_implILNS1_25lookback_scan_determinismE0ELb0ES3_N6thrust23THRUST_200600_302600_NS18transform_iteratorI9row_indexNS9_17counting_iteratorImNS9_11use_defaultESD_SD_EESD_SD_EENS9_6detail15normal_iteratorINS9_10device_ptrIiEEEESK_iNS9_4plusIvEENS9_8equal_toIvEEiEE10hipError_tPvRmT2_T3_T4_T5_mT6_T7_P12ihipStream_tbENKUlT_T0_E_clISt17integral_constantIbLb1EES14_IbLb0EEEEDaS10_S11_EUlS10_E_NS1_11comp_targetILNS1_3genE2ELNS1_11target_archE906ELNS1_3gpuE6ELNS1_3repE0EEENS1_30default_config_static_selectorELNS0_4arch9wavefront6targetE0EEEvT1_,"axG",@progbits,_ZN7rocprim17ROCPRIM_400000_NS6detail17trampoline_kernelINS0_14default_configENS1_27scan_by_key_config_selectorImiEEZZNS1_16scan_by_key_implILNS1_25lookback_scan_determinismE0ELb0ES3_N6thrust23THRUST_200600_302600_NS18transform_iteratorI9row_indexNS9_17counting_iteratorImNS9_11use_defaultESD_SD_EESD_SD_EENS9_6detail15normal_iteratorINS9_10device_ptrIiEEEESK_iNS9_4plusIvEENS9_8equal_toIvEEiEE10hipError_tPvRmT2_T3_T4_T5_mT6_T7_P12ihipStream_tbENKUlT_T0_E_clISt17integral_constantIbLb1EES14_IbLb0EEEEDaS10_S11_EUlS10_E_NS1_11comp_targetILNS1_3genE2ELNS1_11target_archE906ELNS1_3gpuE6ELNS1_3repE0EEENS1_30default_config_static_selectorELNS0_4arch9wavefront6targetE0EEEvT1_,comdat
	.protected	_ZN7rocprim17ROCPRIM_400000_NS6detail17trampoline_kernelINS0_14default_configENS1_27scan_by_key_config_selectorImiEEZZNS1_16scan_by_key_implILNS1_25lookback_scan_determinismE0ELb0ES3_N6thrust23THRUST_200600_302600_NS18transform_iteratorI9row_indexNS9_17counting_iteratorImNS9_11use_defaultESD_SD_EESD_SD_EENS9_6detail15normal_iteratorINS9_10device_ptrIiEEEESK_iNS9_4plusIvEENS9_8equal_toIvEEiEE10hipError_tPvRmT2_T3_T4_T5_mT6_T7_P12ihipStream_tbENKUlT_T0_E_clISt17integral_constantIbLb1EES14_IbLb0EEEEDaS10_S11_EUlS10_E_NS1_11comp_targetILNS1_3genE2ELNS1_11target_archE906ELNS1_3gpuE6ELNS1_3repE0EEENS1_30default_config_static_selectorELNS0_4arch9wavefront6targetE0EEEvT1_ ; -- Begin function _ZN7rocprim17ROCPRIM_400000_NS6detail17trampoline_kernelINS0_14default_configENS1_27scan_by_key_config_selectorImiEEZZNS1_16scan_by_key_implILNS1_25lookback_scan_determinismE0ELb0ES3_N6thrust23THRUST_200600_302600_NS18transform_iteratorI9row_indexNS9_17counting_iteratorImNS9_11use_defaultESD_SD_EESD_SD_EENS9_6detail15normal_iteratorINS9_10device_ptrIiEEEESK_iNS9_4plusIvEENS9_8equal_toIvEEiEE10hipError_tPvRmT2_T3_T4_T5_mT6_T7_P12ihipStream_tbENKUlT_T0_E_clISt17integral_constantIbLb1EES14_IbLb0EEEEDaS10_S11_EUlS10_E_NS1_11comp_targetILNS1_3genE2ELNS1_11target_archE906ELNS1_3gpuE6ELNS1_3repE0EEENS1_30default_config_static_selectorELNS0_4arch9wavefront6targetE0EEEvT1_
	.globl	_ZN7rocprim17ROCPRIM_400000_NS6detail17trampoline_kernelINS0_14default_configENS1_27scan_by_key_config_selectorImiEEZZNS1_16scan_by_key_implILNS1_25lookback_scan_determinismE0ELb0ES3_N6thrust23THRUST_200600_302600_NS18transform_iteratorI9row_indexNS9_17counting_iteratorImNS9_11use_defaultESD_SD_EESD_SD_EENS9_6detail15normal_iteratorINS9_10device_ptrIiEEEESK_iNS9_4plusIvEENS9_8equal_toIvEEiEE10hipError_tPvRmT2_T3_T4_T5_mT6_T7_P12ihipStream_tbENKUlT_T0_E_clISt17integral_constantIbLb1EES14_IbLb0EEEEDaS10_S11_EUlS10_E_NS1_11comp_targetILNS1_3genE2ELNS1_11target_archE906ELNS1_3gpuE6ELNS1_3repE0EEENS1_30default_config_static_selectorELNS0_4arch9wavefront6targetE0EEEvT1_
	.p2align	8
	.type	_ZN7rocprim17ROCPRIM_400000_NS6detail17trampoline_kernelINS0_14default_configENS1_27scan_by_key_config_selectorImiEEZZNS1_16scan_by_key_implILNS1_25lookback_scan_determinismE0ELb0ES3_N6thrust23THRUST_200600_302600_NS18transform_iteratorI9row_indexNS9_17counting_iteratorImNS9_11use_defaultESD_SD_EESD_SD_EENS9_6detail15normal_iteratorINS9_10device_ptrIiEEEESK_iNS9_4plusIvEENS9_8equal_toIvEEiEE10hipError_tPvRmT2_T3_T4_T5_mT6_T7_P12ihipStream_tbENKUlT_T0_E_clISt17integral_constantIbLb1EES14_IbLb0EEEEDaS10_S11_EUlS10_E_NS1_11comp_targetILNS1_3genE2ELNS1_11target_archE906ELNS1_3gpuE6ELNS1_3repE0EEENS1_30default_config_static_selectorELNS0_4arch9wavefront6targetE0EEEvT1_,@function
_ZN7rocprim17ROCPRIM_400000_NS6detail17trampoline_kernelINS0_14default_configENS1_27scan_by_key_config_selectorImiEEZZNS1_16scan_by_key_implILNS1_25lookback_scan_determinismE0ELb0ES3_N6thrust23THRUST_200600_302600_NS18transform_iteratorI9row_indexNS9_17counting_iteratorImNS9_11use_defaultESD_SD_EESD_SD_EENS9_6detail15normal_iteratorINS9_10device_ptrIiEEEESK_iNS9_4plusIvEENS9_8equal_toIvEEiEE10hipError_tPvRmT2_T3_T4_T5_mT6_T7_P12ihipStream_tbENKUlT_T0_E_clISt17integral_constantIbLb1EES14_IbLb0EEEEDaS10_S11_EUlS10_E_NS1_11comp_targetILNS1_3genE2ELNS1_11target_archE906ELNS1_3gpuE6ELNS1_3repE0EEENS1_30default_config_static_selectorELNS0_4arch9wavefront6targetE0EEEvT1_: ; @_ZN7rocprim17ROCPRIM_400000_NS6detail17trampoline_kernelINS0_14default_configENS1_27scan_by_key_config_selectorImiEEZZNS1_16scan_by_key_implILNS1_25lookback_scan_determinismE0ELb0ES3_N6thrust23THRUST_200600_302600_NS18transform_iteratorI9row_indexNS9_17counting_iteratorImNS9_11use_defaultESD_SD_EESD_SD_EENS9_6detail15normal_iteratorINS9_10device_ptrIiEEEESK_iNS9_4plusIvEENS9_8equal_toIvEEiEE10hipError_tPvRmT2_T3_T4_T5_mT6_T7_P12ihipStream_tbENKUlT_T0_E_clISt17integral_constantIbLb1EES14_IbLb0EEEEDaS10_S11_EUlS10_E_NS1_11comp_targetILNS1_3genE2ELNS1_11target_archE906ELNS1_3gpuE6ELNS1_3repE0EEENS1_30default_config_static_selectorELNS0_4arch9wavefront6targetE0EEEvT1_
; %bb.0:
	.section	.rodata,"a",@progbits
	.p2align	6, 0x0
	.amdhsa_kernel _ZN7rocprim17ROCPRIM_400000_NS6detail17trampoline_kernelINS0_14default_configENS1_27scan_by_key_config_selectorImiEEZZNS1_16scan_by_key_implILNS1_25lookback_scan_determinismE0ELb0ES3_N6thrust23THRUST_200600_302600_NS18transform_iteratorI9row_indexNS9_17counting_iteratorImNS9_11use_defaultESD_SD_EESD_SD_EENS9_6detail15normal_iteratorINS9_10device_ptrIiEEEESK_iNS9_4plusIvEENS9_8equal_toIvEEiEE10hipError_tPvRmT2_T3_T4_T5_mT6_T7_P12ihipStream_tbENKUlT_T0_E_clISt17integral_constantIbLb1EES14_IbLb0EEEEDaS10_S11_EUlS10_E_NS1_11comp_targetILNS1_3genE2ELNS1_11target_archE906ELNS1_3gpuE6ELNS1_3repE0EEENS1_30default_config_static_selectorELNS0_4arch9wavefront6targetE0EEEvT1_
		.amdhsa_group_segment_fixed_size 0
		.amdhsa_private_segment_fixed_size 0
		.amdhsa_kernarg_size 120
		.amdhsa_user_sgpr_count 6
		.amdhsa_user_sgpr_private_segment_buffer 1
		.amdhsa_user_sgpr_dispatch_ptr 0
		.amdhsa_user_sgpr_queue_ptr 0
		.amdhsa_user_sgpr_kernarg_segment_ptr 1
		.amdhsa_user_sgpr_dispatch_id 0
		.amdhsa_user_sgpr_flat_scratch_init 0
		.amdhsa_user_sgpr_private_segment_size 0
		.amdhsa_wavefront_size32 1
		.amdhsa_uses_dynamic_stack 0
		.amdhsa_system_sgpr_private_segment_wavefront_offset 0
		.amdhsa_system_sgpr_workgroup_id_x 1
		.amdhsa_system_sgpr_workgroup_id_y 0
		.amdhsa_system_sgpr_workgroup_id_z 0
		.amdhsa_system_sgpr_workgroup_info 0
		.amdhsa_system_vgpr_workitem_id 0
		.amdhsa_next_free_vgpr 1
		.amdhsa_next_free_sgpr 1
		.amdhsa_reserve_vcc 0
		.amdhsa_reserve_flat_scratch 0
		.amdhsa_float_round_mode_32 0
		.amdhsa_float_round_mode_16_64 0
		.amdhsa_float_denorm_mode_32 3
		.amdhsa_float_denorm_mode_16_64 3
		.amdhsa_dx10_clamp 1
		.amdhsa_ieee_mode 1
		.amdhsa_fp16_overflow 0
		.amdhsa_workgroup_processor_mode 1
		.amdhsa_memory_ordered 1
		.amdhsa_forward_progress 1
		.amdhsa_shared_vgpr_count 0
		.amdhsa_exception_fp_ieee_invalid_op 0
		.amdhsa_exception_fp_denorm_src 0
		.amdhsa_exception_fp_ieee_div_zero 0
		.amdhsa_exception_fp_ieee_overflow 0
		.amdhsa_exception_fp_ieee_underflow 0
		.amdhsa_exception_fp_ieee_inexact 0
		.amdhsa_exception_int_div_zero 0
	.end_amdhsa_kernel
	.section	.text._ZN7rocprim17ROCPRIM_400000_NS6detail17trampoline_kernelINS0_14default_configENS1_27scan_by_key_config_selectorImiEEZZNS1_16scan_by_key_implILNS1_25lookback_scan_determinismE0ELb0ES3_N6thrust23THRUST_200600_302600_NS18transform_iteratorI9row_indexNS9_17counting_iteratorImNS9_11use_defaultESD_SD_EESD_SD_EENS9_6detail15normal_iteratorINS9_10device_ptrIiEEEESK_iNS9_4plusIvEENS9_8equal_toIvEEiEE10hipError_tPvRmT2_T3_T4_T5_mT6_T7_P12ihipStream_tbENKUlT_T0_E_clISt17integral_constantIbLb1EES14_IbLb0EEEEDaS10_S11_EUlS10_E_NS1_11comp_targetILNS1_3genE2ELNS1_11target_archE906ELNS1_3gpuE6ELNS1_3repE0EEENS1_30default_config_static_selectorELNS0_4arch9wavefront6targetE0EEEvT1_,"axG",@progbits,_ZN7rocprim17ROCPRIM_400000_NS6detail17trampoline_kernelINS0_14default_configENS1_27scan_by_key_config_selectorImiEEZZNS1_16scan_by_key_implILNS1_25lookback_scan_determinismE0ELb0ES3_N6thrust23THRUST_200600_302600_NS18transform_iteratorI9row_indexNS9_17counting_iteratorImNS9_11use_defaultESD_SD_EESD_SD_EENS9_6detail15normal_iteratorINS9_10device_ptrIiEEEESK_iNS9_4plusIvEENS9_8equal_toIvEEiEE10hipError_tPvRmT2_T3_T4_T5_mT6_T7_P12ihipStream_tbENKUlT_T0_E_clISt17integral_constantIbLb1EES14_IbLb0EEEEDaS10_S11_EUlS10_E_NS1_11comp_targetILNS1_3genE2ELNS1_11target_archE906ELNS1_3gpuE6ELNS1_3repE0EEENS1_30default_config_static_selectorELNS0_4arch9wavefront6targetE0EEEvT1_,comdat
.Lfunc_end30:
	.size	_ZN7rocprim17ROCPRIM_400000_NS6detail17trampoline_kernelINS0_14default_configENS1_27scan_by_key_config_selectorImiEEZZNS1_16scan_by_key_implILNS1_25lookback_scan_determinismE0ELb0ES3_N6thrust23THRUST_200600_302600_NS18transform_iteratorI9row_indexNS9_17counting_iteratorImNS9_11use_defaultESD_SD_EESD_SD_EENS9_6detail15normal_iteratorINS9_10device_ptrIiEEEESK_iNS9_4plusIvEENS9_8equal_toIvEEiEE10hipError_tPvRmT2_T3_T4_T5_mT6_T7_P12ihipStream_tbENKUlT_T0_E_clISt17integral_constantIbLb1EES14_IbLb0EEEEDaS10_S11_EUlS10_E_NS1_11comp_targetILNS1_3genE2ELNS1_11target_archE906ELNS1_3gpuE6ELNS1_3repE0EEENS1_30default_config_static_selectorELNS0_4arch9wavefront6targetE0EEEvT1_, .Lfunc_end30-_ZN7rocprim17ROCPRIM_400000_NS6detail17trampoline_kernelINS0_14default_configENS1_27scan_by_key_config_selectorImiEEZZNS1_16scan_by_key_implILNS1_25lookback_scan_determinismE0ELb0ES3_N6thrust23THRUST_200600_302600_NS18transform_iteratorI9row_indexNS9_17counting_iteratorImNS9_11use_defaultESD_SD_EESD_SD_EENS9_6detail15normal_iteratorINS9_10device_ptrIiEEEESK_iNS9_4plusIvEENS9_8equal_toIvEEiEE10hipError_tPvRmT2_T3_T4_T5_mT6_T7_P12ihipStream_tbENKUlT_T0_E_clISt17integral_constantIbLb1EES14_IbLb0EEEEDaS10_S11_EUlS10_E_NS1_11comp_targetILNS1_3genE2ELNS1_11target_archE906ELNS1_3gpuE6ELNS1_3repE0EEENS1_30default_config_static_selectorELNS0_4arch9wavefront6targetE0EEEvT1_
                                        ; -- End function
	.set _ZN7rocprim17ROCPRIM_400000_NS6detail17trampoline_kernelINS0_14default_configENS1_27scan_by_key_config_selectorImiEEZZNS1_16scan_by_key_implILNS1_25lookback_scan_determinismE0ELb0ES3_N6thrust23THRUST_200600_302600_NS18transform_iteratorI9row_indexNS9_17counting_iteratorImNS9_11use_defaultESD_SD_EESD_SD_EENS9_6detail15normal_iteratorINS9_10device_ptrIiEEEESK_iNS9_4plusIvEENS9_8equal_toIvEEiEE10hipError_tPvRmT2_T3_T4_T5_mT6_T7_P12ihipStream_tbENKUlT_T0_E_clISt17integral_constantIbLb1EES14_IbLb0EEEEDaS10_S11_EUlS10_E_NS1_11comp_targetILNS1_3genE2ELNS1_11target_archE906ELNS1_3gpuE6ELNS1_3repE0EEENS1_30default_config_static_selectorELNS0_4arch9wavefront6targetE0EEEvT1_.num_vgpr, 0
	.set _ZN7rocprim17ROCPRIM_400000_NS6detail17trampoline_kernelINS0_14default_configENS1_27scan_by_key_config_selectorImiEEZZNS1_16scan_by_key_implILNS1_25lookback_scan_determinismE0ELb0ES3_N6thrust23THRUST_200600_302600_NS18transform_iteratorI9row_indexNS9_17counting_iteratorImNS9_11use_defaultESD_SD_EESD_SD_EENS9_6detail15normal_iteratorINS9_10device_ptrIiEEEESK_iNS9_4plusIvEENS9_8equal_toIvEEiEE10hipError_tPvRmT2_T3_T4_T5_mT6_T7_P12ihipStream_tbENKUlT_T0_E_clISt17integral_constantIbLb1EES14_IbLb0EEEEDaS10_S11_EUlS10_E_NS1_11comp_targetILNS1_3genE2ELNS1_11target_archE906ELNS1_3gpuE6ELNS1_3repE0EEENS1_30default_config_static_selectorELNS0_4arch9wavefront6targetE0EEEvT1_.num_agpr, 0
	.set _ZN7rocprim17ROCPRIM_400000_NS6detail17trampoline_kernelINS0_14default_configENS1_27scan_by_key_config_selectorImiEEZZNS1_16scan_by_key_implILNS1_25lookback_scan_determinismE0ELb0ES3_N6thrust23THRUST_200600_302600_NS18transform_iteratorI9row_indexNS9_17counting_iteratorImNS9_11use_defaultESD_SD_EESD_SD_EENS9_6detail15normal_iteratorINS9_10device_ptrIiEEEESK_iNS9_4plusIvEENS9_8equal_toIvEEiEE10hipError_tPvRmT2_T3_T4_T5_mT6_T7_P12ihipStream_tbENKUlT_T0_E_clISt17integral_constantIbLb1EES14_IbLb0EEEEDaS10_S11_EUlS10_E_NS1_11comp_targetILNS1_3genE2ELNS1_11target_archE906ELNS1_3gpuE6ELNS1_3repE0EEENS1_30default_config_static_selectorELNS0_4arch9wavefront6targetE0EEEvT1_.numbered_sgpr, 0
	.set _ZN7rocprim17ROCPRIM_400000_NS6detail17trampoline_kernelINS0_14default_configENS1_27scan_by_key_config_selectorImiEEZZNS1_16scan_by_key_implILNS1_25lookback_scan_determinismE0ELb0ES3_N6thrust23THRUST_200600_302600_NS18transform_iteratorI9row_indexNS9_17counting_iteratorImNS9_11use_defaultESD_SD_EESD_SD_EENS9_6detail15normal_iteratorINS9_10device_ptrIiEEEESK_iNS9_4plusIvEENS9_8equal_toIvEEiEE10hipError_tPvRmT2_T3_T4_T5_mT6_T7_P12ihipStream_tbENKUlT_T0_E_clISt17integral_constantIbLb1EES14_IbLb0EEEEDaS10_S11_EUlS10_E_NS1_11comp_targetILNS1_3genE2ELNS1_11target_archE906ELNS1_3gpuE6ELNS1_3repE0EEENS1_30default_config_static_selectorELNS0_4arch9wavefront6targetE0EEEvT1_.num_named_barrier, 0
	.set _ZN7rocprim17ROCPRIM_400000_NS6detail17trampoline_kernelINS0_14default_configENS1_27scan_by_key_config_selectorImiEEZZNS1_16scan_by_key_implILNS1_25lookback_scan_determinismE0ELb0ES3_N6thrust23THRUST_200600_302600_NS18transform_iteratorI9row_indexNS9_17counting_iteratorImNS9_11use_defaultESD_SD_EESD_SD_EENS9_6detail15normal_iteratorINS9_10device_ptrIiEEEESK_iNS9_4plusIvEENS9_8equal_toIvEEiEE10hipError_tPvRmT2_T3_T4_T5_mT6_T7_P12ihipStream_tbENKUlT_T0_E_clISt17integral_constantIbLb1EES14_IbLb0EEEEDaS10_S11_EUlS10_E_NS1_11comp_targetILNS1_3genE2ELNS1_11target_archE906ELNS1_3gpuE6ELNS1_3repE0EEENS1_30default_config_static_selectorELNS0_4arch9wavefront6targetE0EEEvT1_.private_seg_size, 0
	.set _ZN7rocprim17ROCPRIM_400000_NS6detail17trampoline_kernelINS0_14default_configENS1_27scan_by_key_config_selectorImiEEZZNS1_16scan_by_key_implILNS1_25lookback_scan_determinismE0ELb0ES3_N6thrust23THRUST_200600_302600_NS18transform_iteratorI9row_indexNS9_17counting_iteratorImNS9_11use_defaultESD_SD_EESD_SD_EENS9_6detail15normal_iteratorINS9_10device_ptrIiEEEESK_iNS9_4plusIvEENS9_8equal_toIvEEiEE10hipError_tPvRmT2_T3_T4_T5_mT6_T7_P12ihipStream_tbENKUlT_T0_E_clISt17integral_constantIbLb1EES14_IbLb0EEEEDaS10_S11_EUlS10_E_NS1_11comp_targetILNS1_3genE2ELNS1_11target_archE906ELNS1_3gpuE6ELNS1_3repE0EEENS1_30default_config_static_selectorELNS0_4arch9wavefront6targetE0EEEvT1_.uses_vcc, 0
	.set _ZN7rocprim17ROCPRIM_400000_NS6detail17trampoline_kernelINS0_14default_configENS1_27scan_by_key_config_selectorImiEEZZNS1_16scan_by_key_implILNS1_25lookback_scan_determinismE0ELb0ES3_N6thrust23THRUST_200600_302600_NS18transform_iteratorI9row_indexNS9_17counting_iteratorImNS9_11use_defaultESD_SD_EESD_SD_EENS9_6detail15normal_iteratorINS9_10device_ptrIiEEEESK_iNS9_4plusIvEENS9_8equal_toIvEEiEE10hipError_tPvRmT2_T3_T4_T5_mT6_T7_P12ihipStream_tbENKUlT_T0_E_clISt17integral_constantIbLb1EES14_IbLb0EEEEDaS10_S11_EUlS10_E_NS1_11comp_targetILNS1_3genE2ELNS1_11target_archE906ELNS1_3gpuE6ELNS1_3repE0EEENS1_30default_config_static_selectorELNS0_4arch9wavefront6targetE0EEEvT1_.uses_flat_scratch, 0
	.set _ZN7rocprim17ROCPRIM_400000_NS6detail17trampoline_kernelINS0_14default_configENS1_27scan_by_key_config_selectorImiEEZZNS1_16scan_by_key_implILNS1_25lookback_scan_determinismE0ELb0ES3_N6thrust23THRUST_200600_302600_NS18transform_iteratorI9row_indexNS9_17counting_iteratorImNS9_11use_defaultESD_SD_EESD_SD_EENS9_6detail15normal_iteratorINS9_10device_ptrIiEEEESK_iNS9_4plusIvEENS9_8equal_toIvEEiEE10hipError_tPvRmT2_T3_T4_T5_mT6_T7_P12ihipStream_tbENKUlT_T0_E_clISt17integral_constantIbLb1EES14_IbLb0EEEEDaS10_S11_EUlS10_E_NS1_11comp_targetILNS1_3genE2ELNS1_11target_archE906ELNS1_3gpuE6ELNS1_3repE0EEENS1_30default_config_static_selectorELNS0_4arch9wavefront6targetE0EEEvT1_.has_dyn_sized_stack, 0
	.set _ZN7rocprim17ROCPRIM_400000_NS6detail17trampoline_kernelINS0_14default_configENS1_27scan_by_key_config_selectorImiEEZZNS1_16scan_by_key_implILNS1_25lookback_scan_determinismE0ELb0ES3_N6thrust23THRUST_200600_302600_NS18transform_iteratorI9row_indexNS9_17counting_iteratorImNS9_11use_defaultESD_SD_EESD_SD_EENS9_6detail15normal_iteratorINS9_10device_ptrIiEEEESK_iNS9_4plusIvEENS9_8equal_toIvEEiEE10hipError_tPvRmT2_T3_T4_T5_mT6_T7_P12ihipStream_tbENKUlT_T0_E_clISt17integral_constantIbLb1EES14_IbLb0EEEEDaS10_S11_EUlS10_E_NS1_11comp_targetILNS1_3genE2ELNS1_11target_archE906ELNS1_3gpuE6ELNS1_3repE0EEENS1_30default_config_static_selectorELNS0_4arch9wavefront6targetE0EEEvT1_.has_recursion, 0
	.set _ZN7rocprim17ROCPRIM_400000_NS6detail17trampoline_kernelINS0_14default_configENS1_27scan_by_key_config_selectorImiEEZZNS1_16scan_by_key_implILNS1_25lookback_scan_determinismE0ELb0ES3_N6thrust23THRUST_200600_302600_NS18transform_iteratorI9row_indexNS9_17counting_iteratorImNS9_11use_defaultESD_SD_EESD_SD_EENS9_6detail15normal_iteratorINS9_10device_ptrIiEEEESK_iNS9_4plusIvEENS9_8equal_toIvEEiEE10hipError_tPvRmT2_T3_T4_T5_mT6_T7_P12ihipStream_tbENKUlT_T0_E_clISt17integral_constantIbLb1EES14_IbLb0EEEEDaS10_S11_EUlS10_E_NS1_11comp_targetILNS1_3genE2ELNS1_11target_archE906ELNS1_3gpuE6ELNS1_3repE0EEENS1_30default_config_static_selectorELNS0_4arch9wavefront6targetE0EEEvT1_.has_indirect_call, 0
	.section	.AMDGPU.csdata,"",@progbits
; Kernel info:
; codeLenInByte = 0
; TotalNumSgprs: 0
; NumVgprs: 0
; ScratchSize: 0
; MemoryBound: 0
; FloatMode: 240
; IeeeMode: 1
; LDSByteSize: 0 bytes/workgroup (compile time only)
; SGPRBlocks: 0
; VGPRBlocks: 0
; NumSGPRsForWavesPerEU: 1
; NumVGPRsForWavesPerEU: 1
; Occupancy: 16
; WaveLimiterHint : 0
; COMPUTE_PGM_RSRC2:SCRATCH_EN: 0
; COMPUTE_PGM_RSRC2:USER_SGPR: 6
; COMPUTE_PGM_RSRC2:TRAP_HANDLER: 0
; COMPUTE_PGM_RSRC2:TGID_X_EN: 1
; COMPUTE_PGM_RSRC2:TGID_Y_EN: 0
; COMPUTE_PGM_RSRC2:TGID_Z_EN: 0
; COMPUTE_PGM_RSRC2:TIDIG_COMP_CNT: 0
	.section	.text._ZN7rocprim17ROCPRIM_400000_NS6detail17trampoline_kernelINS0_14default_configENS1_27scan_by_key_config_selectorImiEEZZNS1_16scan_by_key_implILNS1_25lookback_scan_determinismE0ELb0ES3_N6thrust23THRUST_200600_302600_NS18transform_iteratorI9row_indexNS9_17counting_iteratorImNS9_11use_defaultESD_SD_EESD_SD_EENS9_6detail15normal_iteratorINS9_10device_ptrIiEEEESK_iNS9_4plusIvEENS9_8equal_toIvEEiEE10hipError_tPvRmT2_T3_T4_T5_mT6_T7_P12ihipStream_tbENKUlT_T0_E_clISt17integral_constantIbLb1EES14_IbLb0EEEEDaS10_S11_EUlS10_E_NS1_11comp_targetILNS1_3genE10ELNS1_11target_archE1200ELNS1_3gpuE4ELNS1_3repE0EEENS1_30default_config_static_selectorELNS0_4arch9wavefront6targetE0EEEvT1_,"axG",@progbits,_ZN7rocprim17ROCPRIM_400000_NS6detail17trampoline_kernelINS0_14default_configENS1_27scan_by_key_config_selectorImiEEZZNS1_16scan_by_key_implILNS1_25lookback_scan_determinismE0ELb0ES3_N6thrust23THRUST_200600_302600_NS18transform_iteratorI9row_indexNS9_17counting_iteratorImNS9_11use_defaultESD_SD_EESD_SD_EENS9_6detail15normal_iteratorINS9_10device_ptrIiEEEESK_iNS9_4plusIvEENS9_8equal_toIvEEiEE10hipError_tPvRmT2_T3_T4_T5_mT6_T7_P12ihipStream_tbENKUlT_T0_E_clISt17integral_constantIbLb1EES14_IbLb0EEEEDaS10_S11_EUlS10_E_NS1_11comp_targetILNS1_3genE10ELNS1_11target_archE1200ELNS1_3gpuE4ELNS1_3repE0EEENS1_30default_config_static_selectorELNS0_4arch9wavefront6targetE0EEEvT1_,comdat
	.protected	_ZN7rocprim17ROCPRIM_400000_NS6detail17trampoline_kernelINS0_14default_configENS1_27scan_by_key_config_selectorImiEEZZNS1_16scan_by_key_implILNS1_25lookback_scan_determinismE0ELb0ES3_N6thrust23THRUST_200600_302600_NS18transform_iteratorI9row_indexNS9_17counting_iteratorImNS9_11use_defaultESD_SD_EESD_SD_EENS9_6detail15normal_iteratorINS9_10device_ptrIiEEEESK_iNS9_4plusIvEENS9_8equal_toIvEEiEE10hipError_tPvRmT2_T3_T4_T5_mT6_T7_P12ihipStream_tbENKUlT_T0_E_clISt17integral_constantIbLb1EES14_IbLb0EEEEDaS10_S11_EUlS10_E_NS1_11comp_targetILNS1_3genE10ELNS1_11target_archE1200ELNS1_3gpuE4ELNS1_3repE0EEENS1_30default_config_static_selectorELNS0_4arch9wavefront6targetE0EEEvT1_ ; -- Begin function _ZN7rocprim17ROCPRIM_400000_NS6detail17trampoline_kernelINS0_14default_configENS1_27scan_by_key_config_selectorImiEEZZNS1_16scan_by_key_implILNS1_25lookback_scan_determinismE0ELb0ES3_N6thrust23THRUST_200600_302600_NS18transform_iteratorI9row_indexNS9_17counting_iteratorImNS9_11use_defaultESD_SD_EESD_SD_EENS9_6detail15normal_iteratorINS9_10device_ptrIiEEEESK_iNS9_4plusIvEENS9_8equal_toIvEEiEE10hipError_tPvRmT2_T3_T4_T5_mT6_T7_P12ihipStream_tbENKUlT_T0_E_clISt17integral_constantIbLb1EES14_IbLb0EEEEDaS10_S11_EUlS10_E_NS1_11comp_targetILNS1_3genE10ELNS1_11target_archE1200ELNS1_3gpuE4ELNS1_3repE0EEENS1_30default_config_static_selectorELNS0_4arch9wavefront6targetE0EEEvT1_
	.globl	_ZN7rocprim17ROCPRIM_400000_NS6detail17trampoline_kernelINS0_14default_configENS1_27scan_by_key_config_selectorImiEEZZNS1_16scan_by_key_implILNS1_25lookback_scan_determinismE0ELb0ES3_N6thrust23THRUST_200600_302600_NS18transform_iteratorI9row_indexNS9_17counting_iteratorImNS9_11use_defaultESD_SD_EESD_SD_EENS9_6detail15normal_iteratorINS9_10device_ptrIiEEEESK_iNS9_4plusIvEENS9_8equal_toIvEEiEE10hipError_tPvRmT2_T3_T4_T5_mT6_T7_P12ihipStream_tbENKUlT_T0_E_clISt17integral_constantIbLb1EES14_IbLb0EEEEDaS10_S11_EUlS10_E_NS1_11comp_targetILNS1_3genE10ELNS1_11target_archE1200ELNS1_3gpuE4ELNS1_3repE0EEENS1_30default_config_static_selectorELNS0_4arch9wavefront6targetE0EEEvT1_
	.p2align	8
	.type	_ZN7rocprim17ROCPRIM_400000_NS6detail17trampoline_kernelINS0_14default_configENS1_27scan_by_key_config_selectorImiEEZZNS1_16scan_by_key_implILNS1_25lookback_scan_determinismE0ELb0ES3_N6thrust23THRUST_200600_302600_NS18transform_iteratorI9row_indexNS9_17counting_iteratorImNS9_11use_defaultESD_SD_EESD_SD_EENS9_6detail15normal_iteratorINS9_10device_ptrIiEEEESK_iNS9_4plusIvEENS9_8equal_toIvEEiEE10hipError_tPvRmT2_T3_T4_T5_mT6_T7_P12ihipStream_tbENKUlT_T0_E_clISt17integral_constantIbLb1EES14_IbLb0EEEEDaS10_S11_EUlS10_E_NS1_11comp_targetILNS1_3genE10ELNS1_11target_archE1200ELNS1_3gpuE4ELNS1_3repE0EEENS1_30default_config_static_selectorELNS0_4arch9wavefront6targetE0EEEvT1_,@function
_ZN7rocprim17ROCPRIM_400000_NS6detail17trampoline_kernelINS0_14default_configENS1_27scan_by_key_config_selectorImiEEZZNS1_16scan_by_key_implILNS1_25lookback_scan_determinismE0ELb0ES3_N6thrust23THRUST_200600_302600_NS18transform_iteratorI9row_indexNS9_17counting_iteratorImNS9_11use_defaultESD_SD_EESD_SD_EENS9_6detail15normal_iteratorINS9_10device_ptrIiEEEESK_iNS9_4plusIvEENS9_8equal_toIvEEiEE10hipError_tPvRmT2_T3_T4_T5_mT6_T7_P12ihipStream_tbENKUlT_T0_E_clISt17integral_constantIbLb1EES14_IbLb0EEEEDaS10_S11_EUlS10_E_NS1_11comp_targetILNS1_3genE10ELNS1_11target_archE1200ELNS1_3gpuE4ELNS1_3repE0EEENS1_30default_config_static_selectorELNS0_4arch9wavefront6targetE0EEEvT1_: ; @_ZN7rocprim17ROCPRIM_400000_NS6detail17trampoline_kernelINS0_14default_configENS1_27scan_by_key_config_selectorImiEEZZNS1_16scan_by_key_implILNS1_25lookback_scan_determinismE0ELb0ES3_N6thrust23THRUST_200600_302600_NS18transform_iteratorI9row_indexNS9_17counting_iteratorImNS9_11use_defaultESD_SD_EESD_SD_EENS9_6detail15normal_iteratorINS9_10device_ptrIiEEEESK_iNS9_4plusIvEENS9_8equal_toIvEEiEE10hipError_tPvRmT2_T3_T4_T5_mT6_T7_P12ihipStream_tbENKUlT_T0_E_clISt17integral_constantIbLb1EES14_IbLb0EEEEDaS10_S11_EUlS10_E_NS1_11comp_targetILNS1_3genE10ELNS1_11target_archE1200ELNS1_3gpuE4ELNS1_3repE0EEENS1_30default_config_static_selectorELNS0_4arch9wavefront6targetE0EEEvT1_
; %bb.0:
	.section	.rodata,"a",@progbits
	.p2align	6, 0x0
	.amdhsa_kernel _ZN7rocprim17ROCPRIM_400000_NS6detail17trampoline_kernelINS0_14default_configENS1_27scan_by_key_config_selectorImiEEZZNS1_16scan_by_key_implILNS1_25lookback_scan_determinismE0ELb0ES3_N6thrust23THRUST_200600_302600_NS18transform_iteratorI9row_indexNS9_17counting_iteratorImNS9_11use_defaultESD_SD_EESD_SD_EENS9_6detail15normal_iteratorINS9_10device_ptrIiEEEESK_iNS9_4plusIvEENS9_8equal_toIvEEiEE10hipError_tPvRmT2_T3_T4_T5_mT6_T7_P12ihipStream_tbENKUlT_T0_E_clISt17integral_constantIbLb1EES14_IbLb0EEEEDaS10_S11_EUlS10_E_NS1_11comp_targetILNS1_3genE10ELNS1_11target_archE1200ELNS1_3gpuE4ELNS1_3repE0EEENS1_30default_config_static_selectorELNS0_4arch9wavefront6targetE0EEEvT1_
		.amdhsa_group_segment_fixed_size 0
		.amdhsa_private_segment_fixed_size 0
		.amdhsa_kernarg_size 120
		.amdhsa_user_sgpr_count 6
		.amdhsa_user_sgpr_private_segment_buffer 1
		.amdhsa_user_sgpr_dispatch_ptr 0
		.amdhsa_user_sgpr_queue_ptr 0
		.amdhsa_user_sgpr_kernarg_segment_ptr 1
		.amdhsa_user_sgpr_dispatch_id 0
		.amdhsa_user_sgpr_flat_scratch_init 0
		.amdhsa_user_sgpr_private_segment_size 0
		.amdhsa_wavefront_size32 1
		.amdhsa_uses_dynamic_stack 0
		.amdhsa_system_sgpr_private_segment_wavefront_offset 0
		.amdhsa_system_sgpr_workgroup_id_x 1
		.amdhsa_system_sgpr_workgroup_id_y 0
		.amdhsa_system_sgpr_workgroup_id_z 0
		.amdhsa_system_sgpr_workgroup_info 0
		.amdhsa_system_vgpr_workitem_id 0
		.amdhsa_next_free_vgpr 1
		.amdhsa_next_free_sgpr 1
		.amdhsa_reserve_vcc 0
		.amdhsa_reserve_flat_scratch 0
		.amdhsa_float_round_mode_32 0
		.amdhsa_float_round_mode_16_64 0
		.amdhsa_float_denorm_mode_32 3
		.amdhsa_float_denorm_mode_16_64 3
		.amdhsa_dx10_clamp 1
		.amdhsa_ieee_mode 1
		.amdhsa_fp16_overflow 0
		.amdhsa_workgroup_processor_mode 1
		.amdhsa_memory_ordered 1
		.amdhsa_forward_progress 1
		.amdhsa_shared_vgpr_count 0
		.amdhsa_exception_fp_ieee_invalid_op 0
		.amdhsa_exception_fp_denorm_src 0
		.amdhsa_exception_fp_ieee_div_zero 0
		.amdhsa_exception_fp_ieee_overflow 0
		.amdhsa_exception_fp_ieee_underflow 0
		.amdhsa_exception_fp_ieee_inexact 0
		.amdhsa_exception_int_div_zero 0
	.end_amdhsa_kernel
	.section	.text._ZN7rocprim17ROCPRIM_400000_NS6detail17trampoline_kernelINS0_14default_configENS1_27scan_by_key_config_selectorImiEEZZNS1_16scan_by_key_implILNS1_25lookback_scan_determinismE0ELb0ES3_N6thrust23THRUST_200600_302600_NS18transform_iteratorI9row_indexNS9_17counting_iteratorImNS9_11use_defaultESD_SD_EESD_SD_EENS9_6detail15normal_iteratorINS9_10device_ptrIiEEEESK_iNS9_4plusIvEENS9_8equal_toIvEEiEE10hipError_tPvRmT2_T3_T4_T5_mT6_T7_P12ihipStream_tbENKUlT_T0_E_clISt17integral_constantIbLb1EES14_IbLb0EEEEDaS10_S11_EUlS10_E_NS1_11comp_targetILNS1_3genE10ELNS1_11target_archE1200ELNS1_3gpuE4ELNS1_3repE0EEENS1_30default_config_static_selectorELNS0_4arch9wavefront6targetE0EEEvT1_,"axG",@progbits,_ZN7rocprim17ROCPRIM_400000_NS6detail17trampoline_kernelINS0_14default_configENS1_27scan_by_key_config_selectorImiEEZZNS1_16scan_by_key_implILNS1_25lookback_scan_determinismE0ELb0ES3_N6thrust23THRUST_200600_302600_NS18transform_iteratorI9row_indexNS9_17counting_iteratorImNS9_11use_defaultESD_SD_EESD_SD_EENS9_6detail15normal_iteratorINS9_10device_ptrIiEEEESK_iNS9_4plusIvEENS9_8equal_toIvEEiEE10hipError_tPvRmT2_T3_T4_T5_mT6_T7_P12ihipStream_tbENKUlT_T0_E_clISt17integral_constantIbLb1EES14_IbLb0EEEEDaS10_S11_EUlS10_E_NS1_11comp_targetILNS1_3genE10ELNS1_11target_archE1200ELNS1_3gpuE4ELNS1_3repE0EEENS1_30default_config_static_selectorELNS0_4arch9wavefront6targetE0EEEvT1_,comdat
.Lfunc_end31:
	.size	_ZN7rocprim17ROCPRIM_400000_NS6detail17trampoline_kernelINS0_14default_configENS1_27scan_by_key_config_selectorImiEEZZNS1_16scan_by_key_implILNS1_25lookback_scan_determinismE0ELb0ES3_N6thrust23THRUST_200600_302600_NS18transform_iteratorI9row_indexNS9_17counting_iteratorImNS9_11use_defaultESD_SD_EESD_SD_EENS9_6detail15normal_iteratorINS9_10device_ptrIiEEEESK_iNS9_4plusIvEENS9_8equal_toIvEEiEE10hipError_tPvRmT2_T3_T4_T5_mT6_T7_P12ihipStream_tbENKUlT_T0_E_clISt17integral_constantIbLb1EES14_IbLb0EEEEDaS10_S11_EUlS10_E_NS1_11comp_targetILNS1_3genE10ELNS1_11target_archE1200ELNS1_3gpuE4ELNS1_3repE0EEENS1_30default_config_static_selectorELNS0_4arch9wavefront6targetE0EEEvT1_, .Lfunc_end31-_ZN7rocprim17ROCPRIM_400000_NS6detail17trampoline_kernelINS0_14default_configENS1_27scan_by_key_config_selectorImiEEZZNS1_16scan_by_key_implILNS1_25lookback_scan_determinismE0ELb0ES3_N6thrust23THRUST_200600_302600_NS18transform_iteratorI9row_indexNS9_17counting_iteratorImNS9_11use_defaultESD_SD_EESD_SD_EENS9_6detail15normal_iteratorINS9_10device_ptrIiEEEESK_iNS9_4plusIvEENS9_8equal_toIvEEiEE10hipError_tPvRmT2_T3_T4_T5_mT6_T7_P12ihipStream_tbENKUlT_T0_E_clISt17integral_constantIbLb1EES14_IbLb0EEEEDaS10_S11_EUlS10_E_NS1_11comp_targetILNS1_3genE10ELNS1_11target_archE1200ELNS1_3gpuE4ELNS1_3repE0EEENS1_30default_config_static_selectorELNS0_4arch9wavefront6targetE0EEEvT1_
                                        ; -- End function
	.set _ZN7rocprim17ROCPRIM_400000_NS6detail17trampoline_kernelINS0_14default_configENS1_27scan_by_key_config_selectorImiEEZZNS1_16scan_by_key_implILNS1_25lookback_scan_determinismE0ELb0ES3_N6thrust23THRUST_200600_302600_NS18transform_iteratorI9row_indexNS9_17counting_iteratorImNS9_11use_defaultESD_SD_EESD_SD_EENS9_6detail15normal_iteratorINS9_10device_ptrIiEEEESK_iNS9_4plusIvEENS9_8equal_toIvEEiEE10hipError_tPvRmT2_T3_T4_T5_mT6_T7_P12ihipStream_tbENKUlT_T0_E_clISt17integral_constantIbLb1EES14_IbLb0EEEEDaS10_S11_EUlS10_E_NS1_11comp_targetILNS1_3genE10ELNS1_11target_archE1200ELNS1_3gpuE4ELNS1_3repE0EEENS1_30default_config_static_selectorELNS0_4arch9wavefront6targetE0EEEvT1_.num_vgpr, 0
	.set _ZN7rocprim17ROCPRIM_400000_NS6detail17trampoline_kernelINS0_14default_configENS1_27scan_by_key_config_selectorImiEEZZNS1_16scan_by_key_implILNS1_25lookback_scan_determinismE0ELb0ES3_N6thrust23THRUST_200600_302600_NS18transform_iteratorI9row_indexNS9_17counting_iteratorImNS9_11use_defaultESD_SD_EESD_SD_EENS9_6detail15normal_iteratorINS9_10device_ptrIiEEEESK_iNS9_4plusIvEENS9_8equal_toIvEEiEE10hipError_tPvRmT2_T3_T4_T5_mT6_T7_P12ihipStream_tbENKUlT_T0_E_clISt17integral_constantIbLb1EES14_IbLb0EEEEDaS10_S11_EUlS10_E_NS1_11comp_targetILNS1_3genE10ELNS1_11target_archE1200ELNS1_3gpuE4ELNS1_3repE0EEENS1_30default_config_static_selectorELNS0_4arch9wavefront6targetE0EEEvT1_.num_agpr, 0
	.set _ZN7rocprim17ROCPRIM_400000_NS6detail17trampoline_kernelINS0_14default_configENS1_27scan_by_key_config_selectorImiEEZZNS1_16scan_by_key_implILNS1_25lookback_scan_determinismE0ELb0ES3_N6thrust23THRUST_200600_302600_NS18transform_iteratorI9row_indexNS9_17counting_iteratorImNS9_11use_defaultESD_SD_EESD_SD_EENS9_6detail15normal_iteratorINS9_10device_ptrIiEEEESK_iNS9_4plusIvEENS9_8equal_toIvEEiEE10hipError_tPvRmT2_T3_T4_T5_mT6_T7_P12ihipStream_tbENKUlT_T0_E_clISt17integral_constantIbLb1EES14_IbLb0EEEEDaS10_S11_EUlS10_E_NS1_11comp_targetILNS1_3genE10ELNS1_11target_archE1200ELNS1_3gpuE4ELNS1_3repE0EEENS1_30default_config_static_selectorELNS0_4arch9wavefront6targetE0EEEvT1_.numbered_sgpr, 0
	.set _ZN7rocprim17ROCPRIM_400000_NS6detail17trampoline_kernelINS0_14default_configENS1_27scan_by_key_config_selectorImiEEZZNS1_16scan_by_key_implILNS1_25lookback_scan_determinismE0ELb0ES3_N6thrust23THRUST_200600_302600_NS18transform_iteratorI9row_indexNS9_17counting_iteratorImNS9_11use_defaultESD_SD_EESD_SD_EENS9_6detail15normal_iteratorINS9_10device_ptrIiEEEESK_iNS9_4plusIvEENS9_8equal_toIvEEiEE10hipError_tPvRmT2_T3_T4_T5_mT6_T7_P12ihipStream_tbENKUlT_T0_E_clISt17integral_constantIbLb1EES14_IbLb0EEEEDaS10_S11_EUlS10_E_NS1_11comp_targetILNS1_3genE10ELNS1_11target_archE1200ELNS1_3gpuE4ELNS1_3repE0EEENS1_30default_config_static_selectorELNS0_4arch9wavefront6targetE0EEEvT1_.num_named_barrier, 0
	.set _ZN7rocprim17ROCPRIM_400000_NS6detail17trampoline_kernelINS0_14default_configENS1_27scan_by_key_config_selectorImiEEZZNS1_16scan_by_key_implILNS1_25lookback_scan_determinismE0ELb0ES3_N6thrust23THRUST_200600_302600_NS18transform_iteratorI9row_indexNS9_17counting_iteratorImNS9_11use_defaultESD_SD_EESD_SD_EENS9_6detail15normal_iteratorINS9_10device_ptrIiEEEESK_iNS9_4plusIvEENS9_8equal_toIvEEiEE10hipError_tPvRmT2_T3_T4_T5_mT6_T7_P12ihipStream_tbENKUlT_T0_E_clISt17integral_constantIbLb1EES14_IbLb0EEEEDaS10_S11_EUlS10_E_NS1_11comp_targetILNS1_3genE10ELNS1_11target_archE1200ELNS1_3gpuE4ELNS1_3repE0EEENS1_30default_config_static_selectorELNS0_4arch9wavefront6targetE0EEEvT1_.private_seg_size, 0
	.set _ZN7rocprim17ROCPRIM_400000_NS6detail17trampoline_kernelINS0_14default_configENS1_27scan_by_key_config_selectorImiEEZZNS1_16scan_by_key_implILNS1_25lookback_scan_determinismE0ELb0ES3_N6thrust23THRUST_200600_302600_NS18transform_iteratorI9row_indexNS9_17counting_iteratorImNS9_11use_defaultESD_SD_EESD_SD_EENS9_6detail15normal_iteratorINS9_10device_ptrIiEEEESK_iNS9_4plusIvEENS9_8equal_toIvEEiEE10hipError_tPvRmT2_T3_T4_T5_mT6_T7_P12ihipStream_tbENKUlT_T0_E_clISt17integral_constantIbLb1EES14_IbLb0EEEEDaS10_S11_EUlS10_E_NS1_11comp_targetILNS1_3genE10ELNS1_11target_archE1200ELNS1_3gpuE4ELNS1_3repE0EEENS1_30default_config_static_selectorELNS0_4arch9wavefront6targetE0EEEvT1_.uses_vcc, 0
	.set _ZN7rocprim17ROCPRIM_400000_NS6detail17trampoline_kernelINS0_14default_configENS1_27scan_by_key_config_selectorImiEEZZNS1_16scan_by_key_implILNS1_25lookback_scan_determinismE0ELb0ES3_N6thrust23THRUST_200600_302600_NS18transform_iteratorI9row_indexNS9_17counting_iteratorImNS9_11use_defaultESD_SD_EESD_SD_EENS9_6detail15normal_iteratorINS9_10device_ptrIiEEEESK_iNS9_4plusIvEENS9_8equal_toIvEEiEE10hipError_tPvRmT2_T3_T4_T5_mT6_T7_P12ihipStream_tbENKUlT_T0_E_clISt17integral_constantIbLb1EES14_IbLb0EEEEDaS10_S11_EUlS10_E_NS1_11comp_targetILNS1_3genE10ELNS1_11target_archE1200ELNS1_3gpuE4ELNS1_3repE0EEENS1_30default_config_static_selectorELNS0_4arch9wavefront6targetE0EEEvT1_.uses_flat_scratch, 0
	.set _ZN7rocprim17ROCPRIM_400000_NS6detail17trampoline_kernelINS0_14default_configENS1_27scan_by_key_config_selectorImiEEZZNS1_16scan_by_key_implILNS1_25lookback_scan_determinismE0ELb0ES3_N6thrust23THRUST_200600_302600_NS18transform_iteratorI9row_indexNS9_17counting_iteratorImNS9_11use_defaultESD_SD_EESD_SD_EENS9_6detail15normal_iteratorINS9_10device_ptrIiEEEESK_iNS9_4plusIvEENS9_8equal_toIvEEiEE10hipError_tPvRmT2_T3_T4_T5_mT6_T7_P12ihipStream_tbENKUlT_T0_E_clISt17integral_constantIbLb1EES14_IbLb0EEEEDaS10_S11_EUlS10_E_NS1_11comp_targetILNS1_3genE10ELNS1_11target_archE1200ELNS1_3gpuE4ELNS1_3repE0EEENS1_30default_config_static_selectorELNS0_4arch9wavefront6targetE0EEEvT1_.has_dyn_sized_stack, 0
	.set _ZN7rocprim17ROCPRIM_400000_NS6detail17trampoline_kernelINS0_14default_configENS1_27scan_by_key_config_selectorImiEEZZNS1_16scan_by_key_implILNS1_25lookback_scan_determinismE0ELb0ES3_N6thrust23THRUST_200600_302600_NS18transform_iteratorI9row_indexNS9_17counting_iteratorImNS9_11use_defaultESD_SD_EESD_SD_EENS9_6detail15normal_iteratorINS9_10device_ptrIiEEEESK_iNS9_4plusIvEENS9_8equal_toIvEEiEE10hipError_tPvRmT2_T3_T4_T5_mT6_T7_P12ihipStream_tbENKUlT_T0_E_clISt17integral_constantIbLb1EES14_IbLb0EEEEDaS10_S11_EUlS10_E_NS1_11comp_targetILNS1_3genE10ELNS1_11target_archE1200ELNS1_3gpuE4ELNS1_3repE0EEENS1_30default_config_static_selectorELNS0_4arch9wavefront6targetE0EEEvT1_.has_recursion, 0
	.set _ZN7rocprim17ROCPRIM_400000_NS6detail17trampoline_kernelINS0_14default_configENS1_27scan_by_key_config_selectorImiEEZZNS1_16scan_by_key_implILNS1_25lookback_scan_determinismE0ELb0ES3_N6thrust23THRUST_200600_302600_NS18transform_iteratorI9row_indexNS9_17counting_iteratorImNS9_11use_defaultESD_SD_EESD_SD_EENS9_6detail15normal_iteratorINS9_10device_ptrIiEEEESK_iNS9_4plusIvEENS9_8equal_toIvEEiEE10hipError_tPvRmT2_T3_T4_T5_mT6_T7_P12ihipStream_tbENKUlT_T0_E_clISt17integral_constantIbLb1EES14_IbLb0EEEEDaS10_S11_EUlS10_E_NS1_11comp_targetILNS1_3genE10ELNS1_11target_archE1200ELNS1_3gpuE4ELNS1_3repE0EEENS1_30default_config_static_selectorELNS0_4arch9wavefront6targetE0EEEvT1_.has_indirect_call, 0
	.section	.AMDGPU.csdata,"",@progbits
; Kernel info:
; codeLenInByte = 0
; TotalNumSgprs: 0
; NumVgprs: 0
; ScratchSize: 0
; MemoryBound: 0
; FloatMode: 240
; IeeeMode: 1
; LDSByteSize: 0 bytes/workgroup (compile time only)
; SGPRBlocks: 0
; VGPRBlocks: 0
; NumSGPRsForWavesPerEU: 1
; NumVGPRsForWavesPerEU: 1
; Occupancy: 16
; WaveLimiterHint : 0
; COMPUTE_PGM_RSRC2:SCRATCH_EN: 0
; COMPUTE_PGM_RSRC2:USER_SGPR: 6
; COMPUTE_PGM_RSRC2:TRAP_HANDLER: 0
; COMPUTE_PGM_RSRC2:TGID_X_EN: 1
; COMPUTE_PGM_RSRC2:TGID_Y_EN: 0
; COMPUTE_PGM_RSRC2:TGID_Z_EN: 0
; COMPUTE_PGM_RSRC2:TIDIG_COMP_CNT: 0
	.section	.text._ZN7rocprim17ROCPRIM_400000_NS6detail17trampoline_kernelINS0_14default_configENS1_27scan_by_key_config_selectorImiEEZZNS1_16scan_by_key_implILNS1_25lookback_scan_determinismE0ELb0ES3_N6thrust23THRUST_200600_302600_NS18transform_iteratorI9row_indexNS9_17counting_iteratorImNS9_11use_defaultESD_SD_EESD_SD_EENS9_6detail15normal_iteratorINS9_10device_ptrIiEEEESK_iNS9_4plusIvEENS9_8equal_toIvEEiEE10hipError_tPvRmT2_T3_T4_T5_mT6_T7_P12ihipStream_tbENKUlT_T0_E_clISt17integral_constantIbLb1EES14_IbLb0EEEEDaS10_S11_EUlS10_E_NS1_11comp_targetILNS1_3genE9ELNS1_11target_archE1100ELNS1_3gpuE3ELNS1_3repE0EEENS1_30default_config_static_selectorELNS0_4arch9wavefront6targetE0EEEvT1_,"axG",@progbits,_ZN7rocprim17ROCPRIM_400000_NS6detail17trampoline_kernelINS0_14default_configENS1_27scan_by_key_config_selectorImiEEZZNS1_16scan_by_key_implILNS1_25lookback_scan_determinismE0ELb0ES3_N6thrust23THRUST_200600_302600_NS18transform_iteratorI9row_indexNS9_17counting_iteratorImNS9_11use_defaultESD_SD_EESD_SD_EENS9_6detail15normal_iteratorINS9_10device_ptrIiEEEESK_iNS9_4plusIvEENS9_8equal_toIvEEiEE10hipError_tPvRmT2_T3_T4_T5_mT6_T7_P12ihipStream_tbENKUlT_T0_E_clISt17integral_constantIbLb1EES14_IbLb0EEEEDaS10_S11_EUlS10_E_NS1_11comp_targetILNS1_3genE9ELNS1_11target_archE1100ELNS1_3gpuE3ELNS1_3repE0EEENS1_30default_config_static_selectorELNS0_4arch9wavefront6targetE0EEEvT1_,comdat
	.protected	_ZN7rocprim17ROCPRIM_400000_NS6detail17trampoline_kernelINS0_14default_configENS1_27scan_by_key_config_selectorImiEEZZNS1_16scan_by_key_implILNS1_25lookback_scan_determinismE0ELb0ES3_N6thrust23THRUST_200600_302600_NS18transform_iteratorI9row_indexNS9_17counting_iteratorImNS9_11use_defaultESD_SD_EESD_SD_EENS9_6detail15normal_iteratorINS9_10device_ptrIiEEEESK_iNS9_4plusIvEENS9_8equal_toIvEEiEE10hipError_tPvRmT2_T3_T4_T5_mT6_T7_P12ihipStream_tbENKUlT_T0_E_clISt17integral_constantIbLb1EES14_IbLb0EEEEDaS10_S11_EUlS10_E_NS1_11comp_targetILNS1_3genE9ELNS1_11target_archE1100ELNS1_3gpuE3ELNS1_3repE0EEENS1_30default_config_static_selectorELNS0_4arch9wavefront6targetE0EEEvT1_ ; -- Begin function _ZN7rocprim17ROCPRIM_400000_NS6detail17trampoline_kernelINS0_14default_configENS1_27scan_by_key_config_selectorImiEEZZNS1_16scan_by_key_implILNS1_25lookback_scan_determinismE0ELb0ES3_N6thrust23THRUST_200600_302600_NS18transform_iteratorI9row_indexNS9_17counting_iteratorImNS9_11use_defaultESD_SD_EESD_SD_EENS9_6detail15normal_iteratorINS9_10device_ptrIiEEEESK_iNS9_4plusIvEENS9_8equal_toIvEEiEE10hipError_tPvRmT2_T3_T4_T5_mT6_T7_P12ihipStream_tbENKUlT_T0_E_clISt17integral_constantIbLb1EES14_IbLb0EEEEDaS10_S11_EUlS10_E_NS1_11comp_targetILNS1_3genE9ELNS1_11target_archE1100ELNS1_3gpuE3ELNS1_3repE0EEENS1_30default_config_static_selectorELNS0_4arch9wavefront6targetE0EEEvT1_
	.globl	_ZN7rocprim17ROCPRIM_400000_NS6detail17trampoline_kernelINS0_14default_configENS1_27scan_by_key_config_selectorImiEEZZNS1_16scan_by_key_implILNS1_25lookback_scan_determinismE0ELb0ES3_N6thrust23THRUST_200600_302600_NS18transform_iteratorI9row_indexNS9_17counting_iteratorImNS9_11use_defaultESD_SD_EESD_SD_EENS9_6detail15normal_iteratorINS9_10device_ptrIiEEEESK_iNS9_4plusIvEENS9_8equal_toIvEEiEE10hipError_tPvRmT2_T3_T4_T5_mT6_T7_P12ihipStream_tbENKUlT_T0_E_clISt17integral_constantIbLb1EES14_IbLb0EEEEDaS10_S11_EUlS10_E_NS1_11comp_targetILNS1_3genE9ELNS1_11target_archE1100ELNS1_3gpuE3ELNS1_3repE0EEENS1_30default_config_static_selectorELNS0_4arch9wavefront6targetE0EEEvT1_
	.p2align	8
	.type	_ZN7rocprim17ROCPRIM_400000_NS6detail17trampoline_kernelINS0_14default_configENS1_27scan_by_key_config_selectorImiEEZZNS1_16scan_by_key_implILNS1_25lookback_scan_determinismE0ELb0ES3_N6thrust23THRUST_200600_302600_NS18transform_iteratorI9row_indexNS9_17counting_iteratorImNS9_11use_defaultESD_SD_EESD_SD_EENS9_6detail15normal_iteratorINS9_10device_ptrIiEEEESK_iNS9_4plusIvEENS9_8equal_toIvEEiEE10hipError_tPvRmT2_T3_T4_T5_mT6_T7_P12ihipStream_tbENKUlT_T0_E_clISt17integral_constantIbLb1EES14_IbLb0EEEEDaS10_S11_EUlS10_E_NS1_11comp_targetILNS1_3genE9ELNS1_11target_archE1100ELNS1_3gpuE3ELNS1_3repE0EEENS1_30default_config_static_selectorELNS0_4arch9wavefront6targetE0EEEvT1_,@function
_ZN7rocprim17ROCPRIM_400000_NS6detail17trampoline_kernelINS0_14default_configENS1_27scan_by_key_config_selectorImiEEZZNS1_16scan_by_key_implILNS1_25lookback_scan_determinismE0ELb0ES3_N6thrust23THRUST_200600_302600_NS18transform_iteratorI9row_indexNS9_17counting_iteratorImNS9_11use_defaultESD_SD_EESD_SD_EENS9_6detail15normal_iteratorINS9_10device_ptrIiEEEESK_iNS9_4plusIvEENS9_8equal_toIvEEiEE10hipError_tPvRmT2_T3_T4_T5_mT6_T7_P12ihipStream_tbENKUlT_T0_E_clISt17integral_constantIbLb1EES14_IbLb0EEEEDaS10_S11_EUlS10_E_NS1_11comp_targetILNS1_3genE9ELNS1_11target_archE1100ELNS1_3gpuE3ELNS1_3repE0EEENS1_30default_config_static_selectorELNS0_4arch9wavefront6targetE0EEEvT1_: ; @_ZN7rocprim17ROCPRIM_400000_NS6detail17trampoline_kernelINS0_14default_configENS1_27scan_by_key_config_selectorImiEEZZNS1_16scan_by_key_implILNS1_25lookback_scan_determinismE0ELb0ES3_N6thrust23THRUST_200600_302600_NS18transform_iteratorI9row_indexNS9_17counting_iteratorImNS9_11use_defaultESD_SD_EESD_SD_EENS9_6detail15normal_iteratorINS9_10device_ptrIiEEEESK_iNS9_4plusIvEENS9_8equal_toIvEEiEE10hipError_tPvRmT2_T3_T4_T5_mT6_T7_P12ihipStream_tbENKUlT_T0_E_clISt17integral_constantIbLb1EES14_IbLb0EEEEDaS10_S11_EUlS10_E_NS1_11comp_targetILNS1_3genE9ELNS1_11target_archE1100ELNS1_3gpuE3ELNS1_3repE0EEENS1_30default_config_static_selectorELNS0_4arch9wavefront6targetE0EEEvT1_
; %bb.0:
	.section	.rodata,"a",@progbits
	.p2align	6, 0x0
	.amdhsa_kernel _ZN7rocprim17ROCPRIM_400000_NS6detail17trampoline_kernelINS0_14default_configENS1_27scan_by_key_config_selectorImiEEZZNS1_16scan_by_key_implILNS1_25lookback_scan_determinismE0ELb0ES3_N6thrust23THRUST_200600_302600_NS18transform_iteratorI9row_indexNS9_17counting_iteratorImNS9_11use_defaultESD_SD_EESD_SD_EENS9_6detail15normal_iteratorINS9_10device_ptrIiEEEESK_iNS9_4plusIvEENS9_8equal_toIvEEiEE10hipError_tPvRmT2_T3_T4_T5_mT6_T7_P12ihipStream_tbENKUlT_T0_E_clISt17integral_constantIbLb1EES14_IbLb0EEEEDaS10_S11_EUlS10_E_NS1_11comp_targetILNS1_3genE9ELNS1_11target_archE1100ELNS1_3gpuE3ELNS1_3repE0EEENS1_30default_config_static_selectorELNS0_4arch9wavefront6targetE0EEEvT1_
		.amdhsa_group_segment_fixed_size 0
		.amdhsa_private_segment_fixed_size 0
		.amdhsa_kernarg_size 120
		.amdhsa_user_sgpr_count 6
		.amdhsa_user_sgpr_private_segment_buffer 1
		.amdhsa_user_sgpr_dispatch_ptr 0
		.amdhsa_user_sgpr_queue_ptr 0
		.amdhsa_user_sgpr_kernarg_segment_ptr 1
		.amdhsa_user_sgpr_dispatch_id 0
		.amdhsa_user_sgpr_flat_scratch_init 0
		.amdhsa_user_sgpr_private_segment_size 0
		.amdhsa_wavefront_size32 1
		.amdhsa_uses_dynamic_stack 0
		.amdhsa_system_sgpr_private_segment_wavefront_offset 0
		.amdhsa_system_sgpr_workgroup_id_x 1
		.amdhsa_system_sgpr_workgroup_id_y 0
		.amdhsa_system_sgpr_workgroup_id_z 0
		.amdhsa_system_sgpr_workgroup_info 0
		.amdhsa_system_vgpr_workitem_id 0
		.amdhsa_next_free_vgpr 1
		.amdhsa_next_free_sgpr 1
		.amdhsa_reserve_vcc 0
		.amdhsa_reserve_flat_scratch 0
		.amdhsa_float_round_mode_32 0
		.amdhsa_float_round_mode_16_64 0
		.amdhsa_float_denorm_mode_32 3
		.amdhsa_float_denorm_mode_16_64 3
		.amdhsa_dx10_clamp 1
		.amdhsa_ieee_mode 1
		.amdhsa_fp16_overflow 0
		.amdhsa_workgroup_processor_mode 1
		.amdhsa_memory_ordered 1
		.amdhsa_forward_progress 1
		.amdhsa_shared_vgpr_count 0
		.amdhsa_exception_fp_ieee_invalid_op 0
		.amdhsa_exception_fp_denorm_src 0
		.amdhsa_exception_fp_ieee_div_zero 0
		.amdhsa_exception_fp_ieee_overflow 0
		.amdhsa_exception_fp_ieee_underflow 0
		.amdhsa_exception_fp_ieee_inexact 0
		.amdhsa_exception_int_div_zero 0
	.end_amdhsa_kernel
	.section	.text._ZN7rocprim17ROCPRIM_400000_NS6detail17trampoline_kernelINS0_14default_configENS1_27scan_by_key_config_selectorImiEEZZNS1_16scan_by_key_implILNS1_25lookback_scan_determinismE0ELb0ES3_N6thrust23THRUST_200600_302600_NS18transform_iteratorI9row_indexNS9_17counting_iteratorImNS9_11use_defaultESD_SD_EESD_SD_EENS9_6detail15normal_iteratorINS9_10device_ptrIiEEEESK_iNS9_4plusIvEENS9_8equal_toIvEEiEE10hipError_tPvRmT2_T3_T4_T5_mT6_T7_P12ihipStream_tbENKUlT_T0_E_clISt17integral_constantIbLb1EES14_IbLb0EEEEDaS10_S11_EUlS10_E_NS1_11comp_targetILNS1_3genE9ELNS1_11target_archE1100ELNS1_3gpuE3ELNS1_3repE0EEENS1_30default_config_static_selectorELNS0_4arch9wavefront6targetE0EEEvT1_,"axG",@progbits,_ZN7rocprim17ROCPRIM_400000_NS6detail17trampoline_kernelINS0_14default_configENS1_27scan_by_key_config_selectorImiEEZZNS1_16scan_by_key_implILNS1_25lookback_scan_determinismE0ELb0ES3_N6thrust23THRUST_200600_302600_NS18transform_iteratorI9row_indexNS9_17counting_iteratorImNS9_11use_defaultESD_SD_EESD_SD_EENS9_6detail15normal_iteratorINS9_10device_ptrIiEEEESK_iNS9_4plusIvEENS9_8equal_toIvEEiEE10hipError_tPvRmT2_T3_T4_T5_mT6_T7_P12ihipStream_tbENKUlT_T0_E_clISt17integral_constantIbLb1EES14_IbLb0EEEEDaS10_S11_EUlS10_E_NS1_11comp_targetILNS1_3genE9ELNS1_11target_archE1100ELNS1_3gpuE3ELNS1_3repE0EEENS1_30default_config_static_selectorELNS0_4arch9wavefront6targetE0EEEvT1_,comdat
.Lfunc_end32:
	.size	_ZN7rocprim17ROCPRIM_400000_NS6detail17trampoline_kernelINS0_14default_configENS1_27scan_by_key_config_selectorImiEEZZNS1_16scan_by_key_implILNS1_25lookback_scan_determinismE0ELb0ES3_N6thrust23THRUST_200600_302600_NS18transform_iteratorI9row_indexNS9_17counting_iteratorImNS9_11use_defaultESD_SD_EESD_SD_EENS9_6detail15normal_iteratorINS9_10device_ptrIiEEEESK_iNS9_4plusIvEENS9_8equal_toIvEEiEE10hipError_tPvRmT2_T3_T4_T5_mT6_T7_P12ihipStream_tbENKUlT_T0_E_clISt17integral_constantIbLb1EES14_IbLb0EEEEDaS10_S11_EUlS10_E_NS1_11comp_targetILNS1_3genE9ELNS1_11target_archE1100ELNS1_3gpuE3ELNS1_3repE0EEENS1_30default_config_static_selectorELNS0_4arch9wavefront6targetE0EEEvT1_, .Lfunc_end32-_ZN7rocprim17ROCPRIM_400000_NS6detail17trampoline_kernelINS0_14default_configENS1_27scan_by_key_config_selectorImiEEZZNS1_16scan_by_key_implILNS1_25lookback_scan_determinismE0ELb0ES3_N6thrust23THRUST_200600_302600_NS18transform_iteratorI9row_indexNS9_17counting_iteratorImNS9_11use_defaultESD_SD_EESD_SD_EENS9_6detail15normal_iteratorINS9_10device_ptrIiEEEESK_iNS9_4plusIvEENS9_8equal_toIvEEiEE10hipError_tPvRmT2_T3_T4_T5_mT6_T7_P12ihipStream_tbENKUlT_T0_E_clISt17integral_constantIbLb1EES14_IbLb0EEEEDaS10_S11_EUlS10_E_NS1_11comp_targetILNS1_3genE9ELNS1_11target_archE1100ELNS1_3gpuE3ELNS1_3repE0EEENS1_30default_config_static_selectorELNS0_4arch9wavefront6targetE0EEEvT1_
                                        ; -- End function
	.set _ZN7rocprim17ROCPRIM_400000_NS6detail17trampoline_kernelINS0_14default_configENS1_27scan_by_key_config_selectorImiEEZZNS1_16scan_by_key_implILNS1_25lookback_scan_determinismE0ELb0ES3_N6thrust23THRUST_200600_302600_NS18transform_iteratorI9row_indexNS9_17counting_iteratorImNS9_11use_defaultESD_SD_EESD_SD_EENS9_6detail15normal_iteratorINS9_10device_ptrIiEEEESK_iNS9_4plusIvEENS9_8equal_toIvEEiEE10hipError_tPvRmT2_T3_T4_T5_mT6_T7_P12ihipStream_tbENKUlT_T0_E_clISt17integral_constantIbLb1EES14_IbLb0EEEEDaS10_S11_EUlS10_E_NS1_11comp_targetILNS1_3genE9ELNS1_11target_archE1100ELNS1_3gpuE3ELNS1_3repE0EEENS1_30default_config_static_selectorELNS0_4arch9wavefront6targetE0EEEvT1_.num_vgpr, 0
	.set _ZN7rocprim17ROCPRIM_400000_NS6detail17trampoline_kernelINS0_14default_configENS1_27scan_by_key_config_selectorImiEEZZNS1_16scan_by_key_implILNS1_25lookback_scan_determinismE0ELb0ES3_N6thrust23THRUST_200600_302600_NS18transform_iteratorI9row_indexNS9_17counting_iteratorImNS9_11use_defaultESD_SD_EESD_SD_EENS9_6detail15normal_iteratorINS9_10device_ptrIiEEEESK_iNS9_4plusIvEENS9_8equal_toIvEEiEE10hipError_tPvRmT2_T3_T4_T5_mT6_T7_P12ihipStream_tbENKUlT_T0_E_clISt17integral_constantIbLb1EES14_IbLb0EEEEDaS10_S11_EUlS10_E_NS1_11comp_targetILNS1_3genE9ELNS1_11target_archE1100ELNS1_3gpuE3ELNS1_3repE0EEENS1_30default_config_static_selectorELNS0_4arch9wavefront6targetE0EEEvT1_.num_agpr, 0
	.set _ZN7rocprim17ROCPRIM_400000_NS6detail17trampoline_kernelINS0_14default_configENS1_27scan_by_key_config_selectorImiEEZZNS1_16scan_by_key_implILNS1_25lookback_scan_determinismE0ELb0ES3_N6thrust23THRUST_200600_302600_NS18transform_iteratorI9row_indexNS9_17counting_iteratorImNS9_11use_defaultESD_SD_EESD_SD_EENS9_6detail15normal_iteratorINS9_10device_ptrIiEEEESK_iNS9_4plusIvEENS9_8equal_toIvEEiEE10hipError_tPvRmT2_T3_T4_T5_mT6_T7_P12ihipStream_tbENKUlT_T0_E_clISt17integral_constantIbLb1EES14_IbLb0EEEEDaS10_S11_EUlS10_E_NS1_11comp_targetILNS1_3genE9ELNS1_11target_archE1100ELNS1_3gpuE3ELNS1_3repE0EEENS1_30default_config_static_selectorELNS0_4arch9wavefront6targetE0EEEvT1_.numbered_sgpr, 0
	.set _ZN7rocprim17ROCPRIM_400000_NS6detail17trampoline_kernelINS0_14default_configENS1_27scan_by_key_config_selectorImiEEZZNS1_16scan_by_key_implILNS1_25lookback_scan_determinismE0ELb0ES3_N6thrust23THRUST_200600_302600_NS18transform_iteratorI9row_indexNS9_17counting_iteratorImNS9_11use_defaultESD_SD_EESD_SD_EENS9_6detail15normal_iteratorINS9_10device_ptrIiEEEESK_iNS9_4plusIvEENS9_8equal_toIvEEiEE10hipError_tPvRmT2_T3_T4_T5_mT6_T7_P12ihipStream_tbENKUlT_T0_E_clISt17integral_constantIbLb1EES14_IbLb0EEEEDaS10_S11_EUlS10_E_NS1_11comp_targetILNS1_3genE9ELNS1_11target_archE1100ELNS1_3gpuE3ELNS1_3repE0EEENS1_30default_config_static_selectorELNS0_4arch9wavefront6targetE0EEEvT1_.num_named_barrier, 0
	.set _ZN7rocprim17ROCPRIM_400000_NS6detail17trampoline_kernelINS0_14default_configENS1_27scan_by_key_config_selectorImiEEZZNS1_16scan_by_key_implILNS1_25lookback_scan_determinismE0ELb0ES3_N6thrust23THRUST_200600_302600_NS18transform_iteratorI9row_indexNS9_17counting_iteratorImNS9_11use_defaultESD_SD_EESD_SD_EENS9_6detail15normal_iteratorINS9_10device_ptrIiEEEESK_iNS9_4plusIvEENS9_8equal_toIvEEiEE10hipError_tPvRmT2_T3_T4_T5_mT6_T7_P12ihipStream_tbENKUlT_T0_E_clISt17integral_constantIbLb1EES14_IbLb0EEEEDaS10_S11_EUlS10_E_NS1_11comp_targetILNS1_3genE9ELNS1_11target_archE1100ELNS1_3gpuE3ELNS1_3repE0EEENS1_30default_config_static_selectorELNS0_4arch9wavefront6targetE0EEEvT1_.private_seg_size, 0
	.set _ZN7rocprim17ROCPRIM_400000_NS6detail17trampoline_kernelINS0_14default_configENS1_27scan_by_key_config_selectorImiEEZZNS1_16scan_by_key_implILNS1_25lookback_scan_determinismE0ELb0ES3_N6thrust23THRUST_200600_302600_NS18transform_iteratorI9row_indexNS9_17counting_iteratorImNS9_11use_defaultESD_SD_EESD_SD_EENS9_6detail15normal_iteratorINS9_10device_ptrIiEEEESK_iNS9_4plusIvEENS9_8equal_toIvEEiEE10hipError_tPvRmT2_T3_T4_T5_mT6_T7_P12ihipStream_tbENKUlT_T0_E_clISt17integral_constantIbLb1EES14_IbLb0EEEEDaS10_S11_EUlS10_E_NS1_11comp_targetILNS1_3genE9ELNS1_11target_archE1100ELNS1_3gpuE3ELNS1_3repE0EEENS1_30default_config_static_selectorELNS0_4arch9wavefront6targetE0EEEvT1_.uses_vcc, 0
	.set _ZN7rocprim17ROCPRIM_400000_NS6detail17trampoline_kernelINS0_14default_configENS1_27scan_by_key_config_selectorImiEEZZNS1_16scan_by_key_implILNS1_25lookback_scan_determinismE0ELb0ES3_N6thrust23THRUST_200600_302600_NS18transform_iteratorI9row_indexNS9_17counting_iteratorImNS9_11use_defaultESD_SD_EESD_SD_EENS9_6detail15normal_iteratorINS9_10device_ptrIiEEEESK_iNS9_4plusIvEENS9_8equal_toIvEEiEE10hipError_tPvRmT2_T3_T4_T5_mT6_T7_P12ihipStream_tbENKUlT_T0_E_clISt17integral_constantIbLb1EES14_IbLb0EEEEDaS10_S11_EUlS10_E_NS1_11comp_targetILNS1_3genE9ELNS1_11target_archE1100ELNS1_3gpuE3ELNS1_3repE0EEENS1_30default_config_static_selectorELNS0_4arch9wavefront6targetE0EEEvT1_.uses_flat_scratch, 0
	.set _ZN7rocprim17ROCPRIM_400000_NS6detail17trampoline_kernelINS0_14default_configENS1_27scan_by_key_config_selectorImiEEZZNS1_16scan_by_key_implILNS1_25lookback_scan_determinismE0ELb0ES3_N6thrust23THRUST_200600_302600_NS18transform_iteratorI9row_indexNS9_17counting_iteratorImNS9_11use_defaultESD_SD_EESD_SD_EENS9_6detail15normal_iteratorINS9_10device_ptrIiEEEESK_iNS9_4plusIvEENS9_8equal_toIvEEiEE10hipError_tPvRmT2_T3_T4_T5_mT6_T7_P12ihipStream_tbENKUlT_T0_E_clISt17integral_constantIbLb1EES14_IbLb0EEEEDaS10_S11_EUlS10_E_NS1_11comp_targetILNS1_3genE9ELNS1_11target_archE1100ELNS1_3gpuE3ELNS1_3repE0EEENS1_30default_config_static_selectorELNS0_4arch9wavefront6targetE0EEEvT1_.has_dyn_sized_stack, 0
	.set _ZN7rocprim17ROCPRIM_400000_NS6detail17trampoline_kernelINS0_14default_configENS1_27scan_by_key_config_selectorImiEEZZNS1_16scan_by_key_implILNS1_25lookback_scan_determinismE0ELb0ES3_N6thrust23THRUST_200600_302600_NS18transform_iteratorI9row_indexNS9_17counting_iteratorImNS9_11use_defaultESD_SD_EESD_SD_EENS9_6detail15normal_iteratorINS9_10device_ptrIiEEEESK_iNS9_4plusIvEENS9_8equal_toIvEEiEE10hipError_tPvRmT2_T3_T4_T5_mT6_T7_P12ihipStream_tbENKUlT_T0_E_clISt17integral_constantIbLb1EES14_IbLb0EEEEDaS10_S11_EUlS10_E_NS1_11comp_targetILNS1_3genE9ELNS1_11target_archE1100ELNS1_3gpuE3ELNS1_3repE0EEENS1_30default_config_static_selectorELNS0_4arch9wavefront6targetE0EEEvT1_.has_recursion, 0
	.set _ZN7rocprim17ROCPRIM_400000_NS6detail17trampoline_kernelINS0_14default_configENS1_27scan_by_key_config_selectorImiEEZZNS1_16scan_by_key_implILNS1_25lookback_scan_determinismE0ELb0ES3_N6thrust23THRUST_200600_302600_NS18transform_iteratorI9row_indexNS9_17counting_iteratorImNS9_11use_defaultESD_SD_EESD_SD_EENS9_6detail15normal_iteratorINS9_10device_ptrIiEEEESK_iNS9_4plusIvEENS9_8equal_toIvEEiEE10hipError_tPvRmT2_T3_T4_T5_mT6_T7_P12ihipStream_tbENKUlT_T0_E_clISt17integral_constantIbLb1EES14_IbLb0EEEEDaS10_S11_EUlS10_E_NS1_11comp_targetILNS1_3genE9ELNS1_11target_archE1100ELNS1_3gpuE3ELNS1_3repE0EEENS1_30default_config_static_selectorELNS0_4arch9wavefront6targetE0EEEvT1_.has_indirect_call, 0
	.section	.AMDGPU.csdata,"",@progbits
; Kernel info:
; codeLenInByte = 0
; TotalNumSgprs: 0
; NumVgprs: 0
; ScratchSize: 0
; MemoryBound: 0
; FloatMode: 240
; IeeeMode: 1
; LDSByteSize: 0 bytes/workgroup (compile time only)
; SGPRBlocks: 0
; VGPRBlocks: 0
; NumSGPRsForWavesPerEU: 1
; NumVGPRsForWavesPerEU: 1
; Occupancy: 16
; WaveLimiterHint : 0
; COMPUTE_PGM_RSRC2:SCRATCH_EN: 0
; COMPUTE_PGM_RSRC2:USER_SGPR: 6
; COMPUTE_PGM_RSRC2:TRAP_HANDLER: 0
; COMPUTE_PGM_RSRC2:TGID_X_EN: 1
; COMPUTE_PGM_RSRC2:TGID_Y_EN: 0
; COMPUTE_PGM_RSRC2:TGID_Z_EN: 0
; COMPUTE_PGM_RSRC2:TIDIG_COMP_CNT: 0
	.section	.text._ZN7rocprim17ROCPRIM_400000_NS6detail17trampoline_kernelINS0_14default_configENS1_27scan_by_key_config_selectorImiEEZZNS1_16scan_by_key_implILNS1_25lookback_scan_determinismE0ELb0ES3_N6thrust23THRUST_200600_302600_NS18transform_iteratorI9row_indexNS9_17counting_iteratorImNS9_11use_defaultESD_SD_EESD_SD_EENS9_6detail15normal_iteratorINS9_10device_ptrIiEEEESK_iNS9_4plusIvEENS9_8equal_toIvEEiEE10hipError_tPvRmT2_T3_T4_T5_mT6_T7_P12ihipStream_tbENKUlT_T0_E_clISt17integral_constantIbLb1EES14_IbLb0EEEEDaS10_S11_EUlS10_E_NS1_11comp_targetILNS1_3genE8ELNS1_11target_archE1030ELNS1_3gpuE2ELNS1_3repE0EEENS1_30default_config_static_selectorELNS0_4arch9wavefront6targetE0EEEvT1_,"axG",@progbits,_ZN7rocprim17ROCPRIM_400000_NS6detail17trampoline_kernelINS0_14default_configENS1_27scan_by_key_config_selectorImiEEZZNS1_16scan_by_key_implILNS1_25lookback_scan_determinismE0ELb0ES3_N6thrust23THRUST_200600_302600_NS18transform_iteratorI9row_indexNS9_17counting_iteratorImNS9_11use_defaultESD_SD_EESD_SD_EENS9_6detail15normal_iteratorINS9_10device_ptrIiEEEESK_iNS9_4plusIvEENS9_8equal_toIvEEiEE10hipError_tPvRmT2_T3_T4_T5_mT6_T7_P12ihipStream_tbENKUlT_T0_E_clISt17integral_constantIbLb1EES14_IbLb0EEEEDaS10_S11_EUlS10_E_NS1_11comp_targetILNS1_3genE8ELNS1_11target_archE1030ELNS1_3gpuE2ELNS1_3repE0EEENS1_30default_config_static_selectorELNS0_4arch9wavefront6targetE0EEEvT1_,comdat
	.protected	_ZN7rocprim17ROCPRIM_400000_NS6detail17trampoline_kernelINS0_14default_configENS1_27scan_by_key_config_selectorImiEEZZNS1_16scan_by_key_implILNS1_25lookback_scan_determinismE0ELb0ES3_N6thrust23THRUST_200600_302600_NS18transform_iteratorI9row_indexNS9_17counting_iteratorImNS9_11use_defaultESD_SD_EESD_SD_EENS9_6detail15normal_iteratorINS9_10device_ptrIiEEEESK_iNS9_4plusIvEENS9_8equal_toIvEEiEE10hipError_tPvRmT2_T3_T4_T5_mT6_T7_P12ihipStream_tbENKUlT_T0_E_clISt17integral_constantIbLb1EES14_IbLb0EEEEDaS10_S11_EUlS10_E_NS1_11comp_targetILNS1_3genE8ELNS1_11target_archE1030ELNS1_3gpuE2ELNS1_3repE0EEENS1_30default_config_static_selectorELNS0_4arch9wavefront6targetE0EEEvT1_ ; -- Begin function _ZN7rocprim17ROCPRIM_400000_NS6detail17trampoline_kernelINS0_14default_configENS1_27scan_by_key_config_selectorImiEEZZNS1_16scan_by_key_implILNS1_25lookback_scan_determinismE0ELb0ES3_N6thrust23THRUST_200600_302600_NS18transform_iteratorI9row_indexNS9_17counting_iteratorImNS9_11use_defaultESD_SD_EESD_SD_EENS9_6detail15normal_iteratorINS9_10device_ptrIiEEEESK_iNS9_4plusIvEENS9_8equal_toIvEEiEE10hipError_tPvRmT2_T3_T4_T5_mT6_T7_P12ihipStream_tbENKUlT_T0_E_clISt17integral_constantIbLb1EES14_IbLb0EEEEDaS10_S11_EUlS10_E_NS1_11comp_targetILNS1_3genE8ELNS1_11target_archE1030ELNS1_3gpuE2ELNS1_3repE0EEENS1_30default_config_static_selectorELNS0_4arch9wavefront6targetE0EEEvT1_
	.globl	_ZN7rocprim17ROCPRIM_400000_NS6detail17trampoline_kernelINS0_14default_configENS1_27scan_by_key_config_selectorImiEEZZNS1_16scan_by_key_implILNS1_25lookback_scan_determinismE0ELb0ES3_N6thrust23THRUST_200600_302600_NS18transform_iteratorI9row_indexNS9_17counting_iteratorImNS9_11use_defaultESD_SD_EESD_SD_EENS9_6detail15normal_iteratorINS9_10device_ptrIiEEEESK_iNS9_4plusIvEENS9_8equal_toIvEEiEE10hipError_tPvRmT2_T3_T4_T5_mT6_T7_P12ihipStream_tbENKUlT_T0_E_clISt17integral_constantIbLb1EES14_IbLb0EEEEDaS10_S11_EUlS10_E_NS1_11comp_targetILNS1_3genE8ELNS1_11target_archE1030ELNS1_3gpuE2ELNS1_3repE0EEENS1_30default_config_static_selectorELNS0_4arch9wavefront6targetE0EEEvT1_
	.p2align	8
	.type	_ZN7rocprim17ROCPRIM_400000_NS6detail17trampoline_kernelINS0_14default_configENS1_27scan_by_key_config_selectorImiEEZZNS1_16scan_by_key_implILNS1_25lookback_scan_determinismE0ELb0ES3_N6thrust23THRUST_200600_302600_NS18transform_iteratorI9row_indexNS9_17counting_iteratorImNS9_11use_defaultESD_SD_EESD_SD_EENS9_6detail15normal_iteratorINS9_10device_ptrIiEEEESK_iNS9_4plusIvEENS9_8equal_toIvEEiEE10hipError_tPvRmT2_T3_T4_T5_mT6_T7_P12ihipStream_tbENKUlT_T0_E_clISt17integral_constantIbLb1EES14_IbLb0EEEEDaS10_S11_EUlS10_E_NS1_11comp_targetILNS1_3genE8ELNS1_11target_archE1030ELNS1_3gpuE2ELNS1_3repE0EEENS1_30default_config_static_selectorELNS0_4arch9wavefront6targetE0EEEvT1_,@function
_ZN7rocprim17ROCPRIM_400000_NS6detail17trampoline_kernelINS0_14default_configENS1_27scan_by_key_config_selectorImiEEZZNS1_16scan_by_key_implILNS1_25lookback_scan_determinismE0ELb0ES3_N6thrust23THRUST_200600_302600_NS18transform_iteratorI9row_indexNS9_17counting_iteratorImNS9_11use_defaultESD_SD_EESD_SD_EENS9_6detail15normal_iteratorINS9_10device_ptrIiEEEESK_iNS9_4plusIvEENS9_8equal_toIvEEiEE10hipError_tPvRmT2_T3_T4_T5_mT6_T7_P12ihipStream_tbENKUlT_T0_E_clISt17integral_constantIbLb1EES14_IbLb0EEEEDaS10_S11_EUlS10_E_NS1_11comp_targetILNS1_3genE8ELNS1_11target_archE1030ELNS1_3gpuE2ELNS1_3repE0EEENS1_30default_config_static_selectorELNS0_4arch9wavefront6targetE0EEEvT1_: ; @_ZN7rocprim17ROCPRIM_400000_NS6detail17trampoline_kernelINS0_14default_configENS1_27scan_by_key_config_selectorImiEEZZNS1_16scan_by_key_implILNS1_25lookback_scan_determinismE0ELb0ES3_N6thrust23THRUST_200600_302600_NS18transform_iteratorI9row_indexNS9_17counting_iteratorImNS9_11use_defaultESD_SD_EESD_SD_EENS9_6detail15normal_iteratorINS9_10device_ptrIiEEEESK_iNS9_4plusIvEENS9_8equal_toIvEEiEE10hipError_tPvRmT2_T3_T4_T5_mT6_T7_P12ihipStream_tbENKUlT_T0_E_clISt17integral_constantIbLb1EES14_IbLb0EEEEDaS10_S11_EUlS10_E_NS1_11comp_targetILNS1_3genE8ELNS1_11target_archE1030ELNS1_3gpuE2ELNS1_3repE0EEENS1_30default_config_static_selectorELNS0_4arch9wavefront6targetE0EEEvT1_
; %bb.0:
	s_endpgm
	.section	.rodata,"a",@progbits
	.p2align	6, 0x0
	.amdhsa_kernel _ZN7rocprim17ROCPRIM_400000_NS6detail17trampoline_kernelINS0_14default_configENS1_27scan_by_key_config_selectorImiEEZZNS1_16scan_by_key_implILNS1_25lookback_scan_determinismE0ELb0ES3_N6thrust23THRUST_200600_302600_NS18transform_iteratorI9row_indexNS9_17counting_iteratorImNS9_11use_defaultESD_SD_EESD_SD_EENS9_6detail15normal_iteratorINS9_10device_ptrIiEEEESK_iNS9_4plusIvEENS9_8equal_toIvEEiEE10hipError_tPvRmT2_T3_T4_T5_mT6_T7_P12ihipStream_tbENKUlT_T0_E_clISt17integral_constantIbLb1EES14_IbLb0EEEEDaS10_S11_EUlS10_E_NS1_11comp_targetILNS1_3genE8ELNS1_11target_archE1030ELNS1_3gpuE2ELNS1_3repE0EEENS1_30default_config_static_selectorELNS0_4arch9wavefront6targetE0EEEvT1_
		.amdhsa_group_segment_fixed_size 0
		.amdhsa_private_segment_fixed_size 0
		.amdhsa_kernarg_size 120
		.amdhsa_user_sgpr_count 6
		.amdhsa_user_sgpr_private_segment_buffer 1
		.amdhsa_user_sgpr_dispatch_ptr 0
		.amdhsa_user_sgpr_queue_ptr 0
		.amdhsa_user_sgpr_kernarg_segment_ptr 1
		.amdhsa_user_sgpr_dispatch_id 0
		.amdhsa_user_sgpr_flat_scratch_init 0
		.amdhsa_user_sgpr_private_segment_size 0
		.amdhsa_wavefront_size32 1
		.amdhsa_uses_dynamic_stack 0
		.amdhsa_system_sgpr_private_segment_wavefront_offset 0
		.amdhsa_system_sgpr_workgroup_id_x 1
		.amdhsa_system_sgpr_workgroup_id_y 0
		.amdhsa_system_sgpr_workgroup_id_z 0
		.amdhsa_system_sgpr_workgroup_info 0
		.amdhsa_system_vgpr_workitem_id 0
		.amdhsa_next_free_vgpr 1
		.amdhsa_next_free_sgpr 1
		.amdhsa_reserve_vcc 0
		.amdhsa_reserve_flat_scratch 0
		.amdhsa_float_round_mode_32 0
		.amdhsa_float_round_mode_16_64 0
		.amdhsa_float_denorm_mode_32 3
		.amdhsa_float_denorm_mode_16_64 3
		.amdhsa_dx10_clamp 1
		.amdhsa_ieee_mode 1
		.amdhsa_fp16_overflow 0
		.amdhsa_workgroup_processor_mode 1
		.amdhsa_memory_ordered 1
		.amdhsa_forward_progress 1
		.amdhsa_shared_vgpr_count 0
		.amdhsa_exception_fp_ieee_invalid_op 0
		.amdhsa_exception_fp_denorm_src 0
		.amdhsa_exception_fp_ieee_div_zero 0
		.amdhsa_exception_fp_ieee_overflow 0
		.amdhsa_exception_fp_ieee_underflow 0
		.amdhsa_exception_fp_ieee_inexact 0
		.amdhsa_exception_int_div_zero 0
	.end_amdhsa_kernel
	.section	.text._ZN7rocprim17ROCPRIM_400000_NS6detail17trampoline_kernelINS0_14default_configENS1_27scan_by_key_config_selectorImiEEZZNS1_16scan_by_key_implILNS1_25lookback_scan_determinismE0ELb0ES3_N6thrust23THRUST_200600_302600_NS18transform_iteratorI9row_indexNS9_17counting_iteratorImNS9_11use_defaultESD_SD_EESD_SD_EENS9_6detail15normal_iteratorINS9_10device_ptrIiEEEESK_iNS9_4plusIvEENS9_8equal_toIvEEiEE10hipError_tPvRmT2_T3_T4_T5_mT6_T7_P12ihipStream_tbENKUlT_T0_E_clISt17integral_constantIbLb1EES14_IbLb0EEEEDaS10_S11_EUlS10_E_NS1_11comp_targetILNS1_3genE8ELNS1_11target_archE1030ELNS1_3gpuE2ELNS1_3repE0EEENS1_30default_config_static_selectorELNS0_4arch9wavefront6targetE0EEEvT1_,"axG",@progbits,_ZN7rocprim17ROCPRIM_400000_NS6detail17trampoline_kernelINS0_14default_configENS1_27scan_by_key_config_selectorImiEEZZNS1_16scan_by_key_implILNS1_25lookback_scan_determinismE0ELb0ES3_N6thrust23THRUST_200600_302600_NS18transform_iteratorI9row_indexNS9_17counting_iteratorImNS9_11use_defaultESD_SD_EESD_SD_EENS9_6detail15normal_iteratorINS9_10device_ptrIiEEEESK_iNS9_4plusIvEENS9_8equal_toIvEEiEE10hipError_tPvRmT2_T3_T4_T5_mT6_T7_P12ihipStream_tbENKUlT_T0_E_clISt17integral_constantIbLb1EES14_IbLb0EEEEDaS10_S11_EUlS10_E_NS1_11comp_targetILNS1_3genE8ELNS1_11target_archE1030ELNS1_3gpuE2ELNS1_3repE0EEENS1_30default_config_static_selectorELNS0_4arch9wavefront6targetE0EEEvT1_,comdat
.Lfunc_end33:
	.size	_ZN7rocprim17ROCPRIM_400000_NS6detail17trampoline_kernelINS0_14default_configENS1_27scan_by_key_config_selectorImiEEZZNS1_16scan_by_key_implILNS1_25lookback_scan_determinismE0ELb0ES3_N6thrust23THRUST_200600_302600_NS18transform_iteratorI9row_indexNS9_17counting_iteratorImNS9_11use_defaultESD_SD_EESD_SD_EENS9_6detail15normal_iteratorINS9_10device_ptrIiEEEESK_iNS9_4plusIvEENS9_8equal_toIvEEiEE10hipError_tPvRmT2_T3_T4_T5_mT6_T7_P12ihipStream_tbENKUlT_T0_E_clISt17integral_constantIbLb1EES14_IbLb0EEEEDaS10_S11_EUlS10_E_NS1_11comp_targetILNS1_3genE8ELNS1_11target_archE1030ELNS1_3gpuE2ELNS1_3repE0EEENS1_30default_config_static_selectorELNS0_4arch9wavefront6targetE0EEEvT1_, .Lfunc_end33-_ZN7rocprim17ROCPRIM_400000_NS6detail17trampoline_kernelINS0_14default_configENS1_27scan_by_key_config_selectorImiEEZZNS1_16scan_by_key_implILNS1_25lookback_scan_determinismE0ELb0ES3_N6thrust23THRUST_200600_302600_NS18transform_iteratorI9row_indexNS9_17counting_iteratorImNS9_11use_defaultESD_SD_EESD_SD_EENS9_6detail15normal_iteratorINS9_10device_ptrIiEEEESK_iNS9_4plusIvEENS9_8equal_toIvEEiEE10hipError_tPvRmT2_T3_T4_T5_mT6_T7_P12ihipStream_tbENKUlT_T0_E_clISt17integral_constantIbLb1EES14_IbLb0EEEEDaS10_S11_EUlS10_E_NS1_11comp_targetILNS1_3genE8ELNS1_11target_archE1030ELNS1_3gpuE2ELNS1_3repE0EEENS1_30default_config_static_selectorELNS0_4arch9wavefront6targetE0EEEvT1_
                                        ; -- End function
	.set _ZN7rocprim17ROCPRIM_400000_NS6detail17trampoline_kernelINS0_14default_configENS1_27scan_by_key_config_selectorImiEEZZNS1_16scan_by_key_implILNS1_25lookback_scan_determinismE0ELb0ES3_N6thrust23THRUST_200600_302600_NS18transform_iteratorI9row_indexNS9_17counting_iteratorImNS9_11use_defaultESD_SD_EESD_SD_EENS9_6detail15normal_iteratorINS9_10device_ptrIiEEEESK_iNS9_4plusIvEENS9_8equal_toIvEEiEE10hipError_tPvRmT2_T3_T4_T5_mT6_T7_P12ihipStream_tbENKUlT_T0_E_clISt17integral_constantIbLb1EES14_IbLb0EEEEDaS10_S11_EUlS10_E_NS1_11comp_targetILNS1_3genE8ELNS1_11target_archE1030ELNS1_3gpuE2ELNS1_3repE0EEENS1_30default_config_static_selectorELNS0_4arch9wavefront6targetE0EEEvT1_.num_vgpr, 0
	.set _ZN7rocprim17ROCPRIM_400000_NS6detail17trampoline_kernelINS0_14default_configENS1_27scan_by_key_config_selectorImiEEZZNS1_16scan_by_key_implILNS1_25lookback_scan_determinismE0ELb0ES3_N6thrust23THRUST_200600_302600_NS18transform_iteratorI9row_indexNS9_17counting_iteratorImNS9_11use_defaultESD_SD_EESD_SD_EENS9_6detail15normal_iteratorINS9_10device_ptrIiEEEESK_iNS9_4plusIvEENS9_8equal_toIvEEiEE10hipError_tPvRmT2_T3_T4_T5_mT6_T7_P12ihipStream_tbENKUlT_T0_E_clISt17integral_constantIbLb1EES14_IbLb0EEEEDaS10_S11_EUlS10_E_NS1_11comp_targetILNS1_3genE8ELNS1_11target_archE1030ELNS1_3gpuE2ELNS1_3repE0EEENS1_30default_config_static_selectorELNS0_4arch9wavefront6targetE0EEEvT1_.num_agpr, 0
	.set _ZN7rocprim17ROCPRIM_400000_NS6detail17trampoline_kernelINS0_14default_configENS1_27scan_by_key_config_selectorImiEEZZNS1_16scan_by_key_implILNS1_25lookback_scan_determinismE0ELb0ES3_N6thrust23THRUST_200600_302600_NS18transform_iteratorI9row_indexNS9_17counting_iteratorImNS9_11use_defaultESD_SD_EESD_SD_EENS9_6detail15normal_iteratorINS9_10device_ptrIiEEEESK_iNS9_4plusIvEENS9_8equal_toIvEEiEE10hipError_tPvRmT2_T3_T4_T5_mT6_T7_P12ihipStream_tbENKUlT_T0_E_clISt17integral_constantIbLb1EES14_IbLb0EEEEDaS10_S11_EUlS10_E_NS1_11comp_targetILNS1_3genE8ELNS1_11target_archE1030ELNS1_3gpuE2ELNS1_3repE0EEENS1_30default_config_static_selectorELNS0_4arch9wavefront6targetE0EEEvT1_.numbered_sgpr, 0
	.set _ZN7rocprim17ROCPRIM_400000_NS6detail17trampoline_kernelINS0_14default_configENS1_27scan_by_key_config_selectorImiEEZZNS1_16scan_by_key_implILNS1_25lookback_scan_determinismE0ELb0ES3_N6thrust23THRUST_200600_302600_NS18transform_iteratorI9row_indexNS9_17counting_iteratorImNS9_11use_defaultESD_SD_EESD_SD_EENS9_6detail15normal_iteratorINS9_10device_ptrIiEEEESK_iNS9_4plusIvEENS9_8equal_toIvEEiEE10hipError_tPvRmT2_T3_T4_T5_mT6_T7_P12ihipStream_tbENKUlT_T0_E_clISt17integral_constantIbLb1EES14_IbLb0EEEEDaS10_S11_EUlS10_E_NS1_11comp_targetILNS1_3genE8ELNS1_11target_archE1030ELNS1_3gpuE2ELNS1_3repE0EEENS1_30default_config_static_selectorELNS0_4arch9wavefront6targetE0EEEvT1_.num_named_barrier, 0
	.set _ZN7rocprim17ROCPRIM_400000_NS6detail17trampoline_kernelINS0_14default_configENS1_27scan_by_key_config_selectorImiEEZZNS1_16scan_by_key_implILNS1_25lookback_scan_determinismE0ELb0ES3_N6thrust23THRUST_200600_302600_NS18transform_iteratorI9row_indexNS9_17counting_iteratorImNS9_11use_defaultESD_SD_EESD_SD_EENS9_6detail15normal_iteratorINS9_10device_ptrIiEEEESK_iNS9_4plusIvEENS9_8equal_toIvEEiEE10hipError_tPvRmT2_T3_T4_T5_mT6_T7_P12ihipStream_tbENKUlT_T0_E_clISt17integral_constantIbLb1EES14_IbLb0EEEEDaS10_S11_EUlS10_E_NS1_11comp_targetILNS1_3genE8ELNS1_11target_archE1030ELNS1_3gpuE2ELNS1_3repE0EEENS1_30default_config_static_selectorELNS0_4arch9wavefront6targetE0EEEvT1_.private_seg_size, 0
	.set _ZN7rocprim17ROCPRIM_400000_NS6detail17trampoline_kernelINS0_14default_configENS1_27scan_by_key_config_selectorImiEEZZNS1_16scan_by_key_implILNS1_25lookback_scan_determinismE0ELb0ES3_N6thrust23THRUST_200600_302600_NS18transform_iteratorI9row_indexNS9_17counting_iteratorImNS9_11use_defaultESD_SD_EESD_SD_EENS9_6detail15normal_iteratorINS9_10device_ptrIiEEEESK_iNS9_4plusIvEENS9_8equal_toIvEEiEE10hipError_tPvRmT2_T3_T4_T5_mT6_T7_P12ihipStream_tbENKUlT_T0_E_clISt17integral_constantIbLb1EES14_IbLb0EEEEDaS10_S11_EUlS10_E_NS1_11comp_targetILNS1_3genE8ELNS1_11target_archE1030ELNS1_3gpuE2ELNS1_3repE0EEENS1_30default_config_static_selectorELNS0_4arch9wavefront6targetE0EEEvT1_.uses_vcc, 0
	.set _ZN7rocprim17ROCPRIM_400000_NS6detail17trampoline_kernelINS0_14default_configENS1_27scan_by_key_config_selectorImiEEZZNS1_16scan_by_key_implILNS1_25lookback_scan_determinismE0ELb0ES3_N6thrust23THRUST_200600_302600_NS18transform_iteratorI9row_indexNS9_17counting_iteratorImNS9_11use_defaultESD_SD_EESD_SD_EENS9_6detail15normal_iteratorINS9_10device_ptrIiEEEESK_iNS9_4plusIvEENS9_8equal_toIvEEiEE10hipError_tPvRmT2_T3_T4_T5_mT6_T7_P12ihipStream_tbENKUlT_T0_E_clISt17integral_constantIbLb1EES14_IbLb0EEEEDaS10_S11_EUlS10_E_NS1_11comp_targetILNS1_3genE8ELNS1_11target_archE1030ELNS1_3gpuE2ELNS1_3repE0EEENS1_30default_config_static_selectorELNS0_4arch9wavefront6targetE0EEEvT1_.uses_flat_scratch, 0
	.set _ZN7rocprim17ROCPRIM_400000_NS6detail17trampoline_kernelINS0_14default_configENS1_27scan_by_key_config_selectorImiEEZZNS1_16scan_by_key_implILNS1_25lookback_scan_determinismE0ELb0ES3_N6thrust23THRUST_200600_302600_NS18transform_iteratorI9row_indexNS9_17counting_iteratorImNS9_11use_defaultESD_SD_EESD_SD_EENS9_6detail15normal_iteratorINS9_10device_ptrIiEEEESK_iNS9_4plusIvEENS9_8equal_toIvEEiEE10hipError_tPvRmT2_T3_T4_T5_mT6_T7_P12ihipStream_tbENKUlT_T0_E_clISt17integral_constantIbLb1EES14_IbLb0EEEEDaS10_S11_EUlS10_E_NS1_11comp_targetILNS1_3genE8ELNS1_11target_archE1030ELNS1_3gpuE2ELNS1_3repE0EEENS1_30default_config_static_selectorELNS0_4arch9wavefront6targetE0EEEvT1_.has_dyn_sized_stack, 0
	.set _ZN7rocprim17ROCPRIM_400000_NS6detail17trampoline_kernelINS0_14default_configENS1_27scan_by_key_config_selectorImiEEZZNS1_16scan_by_key_implILNS1_25lookback_scan_determinismE0ELb0ES3_N6thrust23THRUST_200600_302600_NS18transform_iteratorI9row_indexNS9_17counting_iteratorImNS9_11use_defaultESD_SD_EESD_SD_EENS9_6detail15normal_iteratorINS9_10device_ptrIiEEEESK_iNS9_4plusIvEENS9_8equal_toIvEEiEE10hipError_tPvRmT2_T3_T4_T5_mT6_T7_P12ihipStream_tbENKUlT_T0_E_clISt17integral_constantIbLb1EES14_IbLb0EEEEDaS10_S11_EUlS10_E_NS1_11comp_targetILNS1_3genE8ELNS1_11target_archE1030ELNS1_3gpuE2ELNS1_3repE0EEENS1_30default_config_static_selectorELNS0_4arch9wavefront6targetE0EEEvT1_.has_recursion, 0
	.set _ZN7rocprim17ROCPRIM_400000_NS6detail17trampoline_kernelINS0_14default_configENS1_27scan_by_key_config_selectorImiEEZZNS1_16scan_by_key_implILNS1_25lookback_scan_determinismE0ELb0ES3_N6thrust23THRUST_200600_302600_NS18transform_iteratorI9row_indexNS9_17counting_iteratorImNS9_11use_defaultESD_SD_EESD_SD_EENS9_6detail15normal_iteratorINS9_10device_ptrIiEEEESK_iNS9_4plusIvEENS9_8equal_toIvEEiEE10hipError_tPvRmT2_T3_T4_T5_mT6_T7_P12ihipStream_tbENKUlT_T0_E_clISt17integral_constantIbLb1EES14_IbLb0EEEEDaS10_S11_EUlS10_E_NS1_11comp_targetILNS1_3genE8ELNS1_11target_archE1030ELNS1_3gpuE2ELNS1_3repE0EEENS1_30default_config_static_selectorELNS0_4arch9wavefront6targetE0EEEvT1_.has_indirect_call, 0
	.section	.AMDGPU.csdata,"",@progbits
; Kernel info:
; codeLenInByte = 4
; TotalNumSgprs: 0
; NumVgprs: 0
; ScratchSize: 0
; MemoryBound: 0
; FloatMode: 240
; IeeeMode: 1
; LDSByteSize: 0 bytes/workgroup (compile time only)
; SGPRBlocks: 0
; VGPRBlocks: 0
; NumSGPRsForWavesPerEU: 1
; NumVGPRsForWavesPerEU: 1
; Occupancy: 16
; WaveLimiterHint : 0
; COMPUTE_PGM_RSRC2:SCRATCH_EN: 0
; COMPUTE_PGM_RSRC2:USER_SGPR: 6
; COMPUTE_PGM_RSRC2:TRAP_HANDLER: 0
; COMPUTE_PGM_RSRC2:TGID_X_EN: 1
; COMPUTE_PGM_RSRC2:TGID_Y_EN: 0
; COMPUTE_PGM_RSRC2:TGID_Z_EN: 0
; COMPUTE_PGM_RSRC2:TIDIG_COMP_CNT: 0
	.section	.text._ZN7rocprim17ROCPRIM_400000_NS6detail30init_device_scan_by_key_kernelINS1_19lookback_scan_stateINS0_5tupleIJibEEELb0ELb1EEEN6thrust23THRUST_200600_302600_NS18transform_iteratorI9row_indexNS8_17counting_iteratorImNS8_11use_defaultESC_SC_EESC_SC_EEjNS1_16block_id_wrapperIjLb1EEEEEvT_jjPNSH_10value_typeET0_PNSt15iterator_traitsISK_E10value_typeEmT1_T2_,"axG",@progbits,_ZN7rocprim17ROCPRIM_400000_NS6detail30init_device_scan_by_key_kernelINS1_19lookback_scan_stateINS0_5tupleIJibEEELb0ELb1EEEN6thrust23THRUST_200600_302600_NS18transform_iteratorI9row_indexNS8_17counting_iteratorImNS8_11use_defaultESC_SC_EESC_SC_EEjNS1_16block_id_wrapperIjLb1EEEEEvT_jjPNSH_10value_typeET0_PNSt15iterator_traitsISK_E10value_typeEmT1_T2_,comdat
	.protected	_ZN7rocprim17ROCPRIM_400000_NS6detail30init_device_scan_by_key_kernelINS1_19lookback_scan_stateINS0_5tupleIJibEEELb0ELb1EEEN6thrust23THRUST_200600_302600_NS18transform_iteratorI9row_indexNS8_17counting_iteratorImNS8_11use_defaultESC_SC_EESC_SC_EEjNS1_16block_id_wrapperIjLb1EEEEEvT_jjPNSH_10value_typeET0_PNSt15iterator_traitsISK_E10value_typeEmT1_T2_ ; -- Begin function _ZN7rocprim17ROCPRIM_400000_NS6detail30init_device_scan_by_key_kernelINS1_19lookback_scan_stateINS0_5tupleIJibEEELb0ELb1EEEN6thrust23THRUST_200600_302600_NS18transform_iteratorI9row_indexNS8_17counting_iteratorImNS8_11use_defaultESC_SC_EESC_SC_EEjNS1_16block_id_wrapperIjLb1EEEEEvT_jjPNSH_10value_typeET0_PNSt15iterator_traitsISK_E10value_typeEmT1_T2_
	.globl	_ZN7rocprim17ROCPRIM_400000_NS6detail30init_device_scan_by_key_kernelINS1_19lookback_scan_stateINS0_5tupleIJibEEELb0ELb1EEEN6thrust23THRUST_200600_302600_NS18transform_iteratorI9row_indexNS8_17counting_iteratorImNS8_11use_defaultESC_SC_EESC_SC_EEjNS1_16block_id_wrapperIjLb1EEEEEvT_jjPNSH_10value_typeET0_PNSt15iterator_traitsISK_E10value_typeEmT1_T2_
	.p2align	8
	.type	_ZN7rocprim17ROCPRIM_400000_NS6detail30init_device_scan_by_key_kernelINS1_19lookback_scan_stateINS0_5tupleIJibEEELb0ELb1EEEN6thrust23THRUST_200600_302600_NS18transform_iteratorI9row_indexNS8_17counting_iteratorImNS8_11use_defaultESC_SC_EESC_SC_EEjNS1_16block_id_wrapperIjLb1EEEEEvT_jjPNSH_10value_typeET0_PNSt15iterator_traitsISK_E10value_typeEmT1_T2_,@function
_ZN7rocprim17ROCPRIM_400000_NS6detail30init_device_scan_by_key_kernelINS1_19lookback_scan_stateINS0_5tupleIJibEEELb0ELb1EEEN6thrust23THRUST_200600_302600_NS18transform_iteratorI9row_indexNS8_17counting_iteratorImNS8_11use_defaultESC_SC_EESC_SC_EEjNS1_16block_id_wrapperIjLb1EEEEEvT_jjPNSH_10value_typeET0_PNSt15iterator_traitsISK_E10value_typeEmT1_T2_: ; @_ZN7rocprim17ROCPRIM_400000_NS6detail30init_device_scan_by_key_kernelINS1_19lookback_scan_stateINS0_5tupleIJibEEELb0ELb1EEEN6thrust23THRUST_200600_302600_NS18transform_iteratorI9row_indexNS8_17counting_iteratorImNS8_11use_defaultESC_SC_EESC_SC_EEjNS1_16block_id_wrapperIjLb1EEEEEvT_jjPNSH_10value_typeET0_PNSt15iterator_traitsISK_E10value_typeEmT1_T2_
; %bb.0:
	s_clause 0x2
	s_load_dword s0, s[4:5], 0x54
	s_load_dwordx8 s[8:15], s[4:5], 0x0
	s_load_dword s7, s[4:5], 0x48
	s_waitcnt lgkmcnt(0)
	s_and_b32 s16, s0, 0xffff
	s_cmp_eq_u64 s[12:13], 0
	v_mad_u64_u32 v[4:5], null, s6, s16, v[0:1]
	s_cbranch_scc1 .LBB34_8
; %bb.1:
	s_cmp_lt_u32 s11, s10
	s_mov_b32 s1, 0
	s_cselect_b32 s0, s11, 0
	s_mov_b32 s2, exec_lo
	v_cmpx_eq_u32_e64 s0, v4
	s_cbranch_execz .LBB34_7
; %bb.2:
	s_add_i32 s0, s11, 32
	v_mov_b32_e32 v6, 0
	s_lshl_b64 s[0:1], s[0:1], 4
	s_mov_b32 s3, exec_lo
	s_add_u32 s0, s8, s0
	s_addc_u32 s1, s9, s1
	v_mov_b32_e32 v0, s0
	v_mov_b32_e32 v1, s1
	;;#ASMSTART
	global_load_dwordx4 v[0:3], v[0:1] off glc dlc	
s_waitcnt vmcnt(0)
	;;#ASMEND
	v_and_b32_e32 v5, 0xff, v2
	v_cmpx_eq_u64_e32 0, v[5:6]
	s_cbranch_execz .LBB34_6
; %bb.3:
	v_mov_b32_e32 v8, s1
	v_mov_b32_e32 v7, s0
	s_mov_b32 s0, 0
.LBB34_4:                               ; =>This Inner Loop Header: Depth=1
	;;#ASMSTART
	global_load_dwordx4 v[0:3], v[7:8] off glc dlc	
s_waitcnt vmcnt(0)
	;;#ASMEND
	v_and_b32_e32 v5, 0xff, v2
	v_cmp_ne_u64_e32 vcc_lo, 0, v[5:6]
	s_or_b32 s0, vcc_lo, s0
	s_andn2_b32 exec_lo, exec_lo, s0
	s_cbranch_execnz .LBB34_4
; %bb.5:
	s_or_b32 exec_lo, exec_lo, s0
.LBB34_6:
	s_or_b32 exec_lo, exec_lo, s3
	v_mov_b32_e32 v2, 0
	global_store_dword v2, v0, s[12:13]
	global_store_byte v2, v1, s[12:13] offset:4
.LBB34_7:
	s_or_b32 exec_lo, exec_lo, s2
.LBB34_8:
	s_mov_b32 s0, exec_lo
	v_cmpx_eq_u32_e32 0, v4
	s_cbranch_execz .LBB34_10
; %bb.9:
	s_load_dwordx2 s[2:3], s[4:5], 0x40
	v_mov_b32_e32 v0, 0
	s_waitcnt lgkmcnt(0)
	global_store_dword v0, v0, s[2:3]
.LBB34_10:
	s_or_b32 exec_lo, exec_lo, s0
	s_mov_b32 s0, exec_lo
	v_cmpx_gt_u32_e64 s10, v4
	s_cbranch_execz .LBB34_12
; %bb.11:
	v_add_nc_u32_e32 v0, 32, v4
	v_mov_b32_e32 v1, 0
	v_lshlrev_b64 v[5:6], 4, v[0:1]
	v_mov_b32_e32 v0, v1
	v_mov_b32_e32 v2, v1
	;; [unrolled: 1-line block ×3, first 2 shown]
	v_add_co_u32 v5, vcc_lo, s8, v5
	v_add_co_ci_u32_e64 v6, null, s9, v6, vcc_lo
	global_store_dwordx4 v[5:6], v[0:3], off
.LBB34_12:
	s_or_b32 exec_lo, exec_lo, s0
	v_mov_b32_e32 v5, 0
	s_mov_b32 s0, exec_lo
	v_cmpx_gt_u32_e32 32, v4
	s_cbranch_execz .LBB34_14
; %bb.13:
	v_lshlrev_b64 v[6:7], 4, v[4:5]
	v_mov_b32_e32 v2, 0xff
	v_mov_b32_e32 v0, v5
	;; [unrolled: 1-line block ×4, first 2 shown]
	v_add_co_u32 v6, vcc_lo, s8, v6
	v_add_co_ci_u32_e64 v7, null, s9, v7, vcc_lo
	global_store_dwordx4 v[6:7], v[0:3], off
.LBB34_14:
	s_or_b32 exec_lo, exec_lo, s0
	s_load_dwordx2 s[2:3], s[4:5], 0x30
	s_mov_b32 s0, exec_lo
	s_waitcnt lgkmcnt(0)
	v_cmpx_gt_u64_e64 s[2:3], v[4:5]
	s_cbranch_execz .LBB34_21
; %bb.15:
	s_clause 0x1
	s_load_dwordx4 s[8:11], s[4:5], 0x20
	s_load_dword s6, s[4:5], 0x38
	s_mov_b32 s5, 0
	s_waitcnt lgkmcnt(0)
	v_cvt_f32_u32_e32 v0, s8
	v_cvt_f32_u32_e32 v1, s9
	;; [unrolled: 1-line block ×3, first 2 shown]
	s_add_i32 s0, s6, -1
	s_add_u32 s0, s0, s14
	v_fmamk_f32 v0, v1, 0x4f800000, v0
	v_rcp_iflag_f32_e32 v1, v2
	s_addc_u32 s1, 0, s15
	s_sub_i32 s4, 0, s8
	v_lshlrev_b64 v[2:3], 3, v[4:5]
	v_rcp_f32_e32 v0, v0
	v_add_co_u32 v2, vcc_lo, s10, v2
	v_mul_f32_e32 v1, 0x4f7ffffe, v1
	v_add_co_ci_u32_e64 v3, null, s11, v3, vcc_lo
	v_mul_f32_e32 v6, 0x5f7ffffc, v0
	v_cvt_u32_f32_e32 v1, v1
	v_mul_f32_e32 v0, 0x2f800000, v6
	v_mul_lo_u32 v7, s4, v1
	s_mul_i32 s4, s7, s16
	v_trunc_f32_e32 v8, v0
	v_mov_b32_e32 v0, 0
	s_mul_i32 s10, s6, s4
	v_mul_hi_u32 v9, v1, v7
	v_fmamk_f32 v10, v8, 0xcf800000, v6
	v_mad_u64_u32 v[6:7], null, s6, v4, s[0:1]
	v_cvt_u32_f32_e32 v11, v8
	s_mul_hi_u32 s1, s6, s4
	v_cvt_u32_f32_e32 v10, v10
	s_lshl_b64 s[6:7], s[4:5], 3
	v_add_nc_u32_e32 v12, v1, v9
	s_branch .LBB34_17
.LBB34_16:                              ;   in Loop: Header=BB34_17 Depth=1
	s_or_b32 exec_lo, exec_lo, s0
	v_add_co_u32 v4, vcc_lo, v4, s4
	v_add_co_ci_u32_e64 v5, null, 0, v5, vcc_lo
	v_add_co_u32 v6, vcc_lo, v6, s10
	v_add_co_ci_u32_e64 v7, null, s1, v7, vcc_lo
	v_cmp_le_u64_e32 vcc_lo, s[2:3], v[4:5]
	global_store_dwordx2 v[2:3], v[8:9], off
	v_add_co_u32 v2, s0, v2, s6
	v_add_co_ci_u32_e64 v3, null, s7, v3, s0
	s_or_b32 s5, vcc_lo, s5
	s_andn2_b32 exec_lo, exec_lo, s5
	s_cbranch_execz .LBB34_21
.LBB34_17:                              ; =>This Inner Loop Header: Depth=1
	v_or_b32_e32 v1, s9, v7
                                        ; implicit-def: $vgpr8_vgpr9
	s_mov_b32 s0, exec_lo
	v_cmpx_ne_u64_e32 0, v[0:1]
	s_xor_b32 s11, exec_lo, s0
	s_cbranch_execz .LBB34_19
; %bb.18:                               ;   in Loop: Header=BB34_17 Depth=1
	v_readfirstlane_b32 s0, v10
	v_readfirstlane_b32 s12, v11
	s_sub_u32 s13, 0, s8
	s_subb_u32 s14, 0, s9
	s_mul_hi_u32 s15, s13, s0
	s_mul_i32 s16, s13, s12
	s_mul_i32 s17, s14, s0
	s_add_i32 s15, s15, s16
	s_mul_i32 s16, s13, s0
	s_add_i32 s15, s15, s17
	s_mul_hi_u32 s17, s0, s16
	s_mul_i32 s18, s0, s15
	s_mul_hi_u32 s19, s0, s15
	s_add_u32 s17, s17, s18
	s_mul_i32 s20, s12, s16
	s_addc_u32 s18, 0, s19
	s_mul_hi_u32 s16, s12, s16
	s_mul_hi_u32 s19, s12, s15
	s_add_u32 s17, s17, s20
	s_addc_u32 s16, s18, s16
	s_mul_i32 s15, s12, s15
	s_addc_u32 s17, s19, 0
	s_add_u32 s15, s16, s15
	s_addc_u32 s16, 0, s17
	s_add_u32 s0, s0, s15
	s_cselect_b32 s15, -1, 0
	s_mul_i32 s14, s14, s0
	s_cmp_lg_u32 s15, 0
	s_addc_u32 s12, s12, s16
	s_mul_hi_u32 s16, s13, s0
	s_mul_i32 s15, s13, s12
	s_mul_i32 s13, s13, s0
	s_add_i32 s15, s16, s15
	s_mul_hi_u32 s16, s12, s13
	s_add_i32 s15, s15, s14
	s_mul_i32 s17, s12, s13
	s_mul_i32 s18, s0, s15
	s_mul_hi_u32 s13, s0, s13
	s_mul_hi_u32 s19, s0, s15
	s_add_u32 s13, s13, s18
	s_addc_u32 s18, 0, s19
	s_mul_hi_u32 s14, s12, s15
	s_add_u32 s13, s13, s17
	s_addc_u32 s13, s18, s16
	s_mul_i32 s15, s12, s15
	s_addc_u32 s14, s14, 0
	s_add_u32 s13, s13, s15
	s_addc_u32 s14, 0, s14
	s_add_u32 s0, s0, s13
	s_cselect_b32 s13, -1, 0
	v_mul_hi_u32 v1, v6, s0
	s_cmp_lg_u32 s13, 0
	v_mad_u64_u32 v[13:14], null, v7, s0, 0
	s_addc_u32 s12, s12, s14
	v_mad_u64_u32 v[8:9], null, v6, s12, 0
	v_add_co_u32 v1, vcc_lo, v1, v8
	v_add_co_ci_u32_e64 v15, null, 0, v9, vcc_lo
	v_mad_u64_u32 v[8:9], null, v7, s12, 0
	v_add_co_u32 v1, vcc_lo, v1, v13
	v_add_co_ci_u32_e32 v1, vcc_lo, v15, v14, vcc_lo
	v_add_co_ci_u32_e32 v9, vcc_lo, 0, v9, vcc_lo
	v_add_co_u32 v1, vcc_lo, v1, v8
	v_add_co_ci_u32_e64 v13, null, 0, v9, vcc_lo
	v_mul_lo_u32 v14, s9, v1
	v_mad_u64_u32 v[8:9], null, s8, v1, 0
	v_mul_lo_u32 v15, s8, v13
	v_sub_co_u32 v8, vcc_lo, v6, v8
	v_add3_u32 v9, v9, v15, v14
	v_add_co_u32 v15, s0, v1, 2
	v_add_co_ci_u32_e64 v16, null, 0, v13, s0
	v_sub_nc_u32_e32 v14, v7, v9
	v_sub_co_u32 v17, s0, v8, s8
	v_sub_co_ci_u32_e64 v9, null, v7, v9, vcc_lo
	v_subrev_co_ci_u32_e64 v14, null, s9, v14, vcc_lo
	v_cmp_le_u32_e32 vcc_lo, s8, v17
	v_subrev_co_ci_u32_e64 v14, null, 0, v14, s0
	v_cndmask_b32_e64 v17, 0, -1, vcc_lo
	v_cmp_eq_u32_e64 s0, s9, v9
	v_cmp_le_u32_e32 vcc_lo, s9, v14
	v_cndmask_b32_e64 v18, 0, -1, vcc_lo
	v_cmp_le_u32_e32 vcc_lo, s8, v8
	v_cndmask_b32_e64 v8, 0, -1, vcc_lo
	v_cmp_le_u32_e32 vcc_lo, s9, v9
	v_cndmask_b32_e64 v19, 0, -1, vcc_lo
	v_cmp_eq_u32_e32 vcc_lo, s9, v14
	v_cndmask_b32_e64 v8, v19, v8, s0
	v_cndmask_b32_e32 v14, v18, v17, vcc_lo
	v_add_co_u32 v17, vcc_lo, v1, 1
	v_add_co_ci_u32_e64 v18, null, 0, v13, vcc_lo
	v_cmp_ne_u32_e32 vcc_lo, 0, v14
	v_cndmask_b32_e32 v9, v18, v16, vcc_lo
	v_cndmask_b32_e32 v14, v17, v15, vcc_lo
	v_cmp_ne_u32_e32 vcc_lo, 0, v8
	v_cndmask_b32_e32 v9, v13, v9, vcc_lo
	v_cndmask_b32_e32 v8, v1, v14, vcc_lo
.LBB34_19:                              ;   in Loop: Header=BB34_17 Depth=1
	s_andn2_saveexec_b32 s0, s11
	s_cbranch_execz .LBB34_16
; %bb.20:                               ;   in Loop: Header=BB34_17 Depth=1
	v_mul_hi_u32 v1, v6, v12
	v_mul_lo_u32 v8, v1, s8
	v_add_nc_u32_e32 v9, 1, v1
	v_sub_nc_u32_e32 v8, v6, v8
	v_subrev_nc_u32_e32 v13, s8, v8
	v_cmp_le_u32_e32 vcc_lo, s8, v8
	v_cndmask_b32_e32 v8, v8, v13, vcc_lo
	v_cndmask_b32_e32 v1, v1, v9, vcc_lo
	v_cmp_le_u32_e32 vcc_lo, s8, v8
	v_add_nc_u32_e32 v9, 1, v1
	v_cndmask_b32_e32 v8, v1, v9, vcc_lo
	v_mov_b32_e32 v9, v0
	s_branch .LBB34_16
.LBB34_21:
	s_endpgm
	.section	.rodata,"a",@progbits
	.p2align	6, 0x0
	.amdhsa_kernel _ZN7rocprim17ROCPRIM_400000_NS6detail30init_device_scan_by_key_kernelINS1_19lookback_scan_stateINS0_5tupleIJibEEELb0ELb1EEEN6thrust23THRUST_200600_302600_NS18transform_iteratorI9row_indexNS8_17counting_iteratorImNS8_11use_defaultESC_SC_EESC_SC_EEjNS1_16block_id_wrapperIjLb1EEEEEvT_jjPNSH_10value_typeET0_PNSt15iterator_traitsISK_E10value_typeEmT1_T2_
		.amdhsa_group_segment_fixed_size 0
		.amdhsa_private_segment_fixed_size 0
		.amdhsa_kernarg_size 328
		.amdhsa_user_sgpr_count 6
		.amdhsa_user_sgpr_private_segment_buffer 1
		.amdhsa_user_sgpr_dispatch_ptr 0
		.amdhsa_user_sgpr_queue_ptr 0
		.amdhsa_user_sgpr_kernarg_segment_ptr 1
		.amdhsa_user_sgpr_dispatch_id 0
		.amdhsa_user_sgpr_flat_scratch_init 0
		.amdhsa_user_sgpr_private_segment_size 0
		.amdhsa_wavefront_size32 1
		.amdhsa_uses_dynamic_stack 0
		.amdhsa_system_sgpr_private_segment_wavefront_offset 0
		.amdhsa_system_sgpr_workgroup_id_x 1
		.amdhsa_system_sgpr_workgroup_id_y 0
		.amdhsa_system_sgpr_workgroup_id_z 0
		.amdhsa_system_sgpr_workgroup_info 0
		.amdhsa_system_vgpr_workitem_id 0
		.amdhsa_next_free_vgpr 20
		.amdhsa_next_free_sgpr 21
		.amdhsa_reserve_vcc 1
		.amdhsa_reserve_flat_scratch 0
		.amdhsa_float_round_mode_32 0
		.amdhsa_float_round_mode_16_64 0
		.amdhsa_float_denorm_mode_32 3
		.amdhsa_float_denorm_mode_16_64 3
		.amdhsa_dx10_clamp 1
		.amdhsa_ieee_mode 1
		.amdhsa_fp16_overflow 0
		.amdhsa_workgroup_processor_mode 1
		.amdhsa_memory_ordered 1
		.amdhsa_forward_progress 1
		.amdhsa_shared_vgpr_count 0
		.amdhsa_exception_fp_ieee_invalid_op 0
		.amdhsa_exception_fp_denorm_src 0
		.amdhsa_exception_fp_ieee_div_zero 0
		.amdhsa_exception_fp_ieee_overflow 0
		.amdhsa_exception_fp_ieee_underflow 0
		.amdhsa_exception_fp_ieee_inexact 0
		.amdhsa_exception_int_div_zero 0
	.end_amdhsa_kernel
	.section	.text._ZN7rocprim17ROCPRIM_400000_NS6detail30init_device_scan_by_key_kernelINS1_19lookback_scan_stateINS0_5tupleIJibEEELb0ELb1EEEN6thrust23THRUST_200600_302600_NS18transform_iteratorI9row_indexNS8_17counting_iteratorImNS8_11use_defaultESC_SC_EESC_SC_EEjNS1_16block_id_wrapperIjLb1EEEEEvT_jjPNSH_10value_typeET0_PNSt15iterator_traitsISK_E10value_typeEmT1_T2_,"axG",@progbits,_ZN7rocprim17ROCPRIM_400000_NS6detail30init_device_scan_by_key_kernelINS1_19lookback_scan_stateINS0_5tupleIJibEEELb0ELb1EEEN6thrust23THRUST_200600_302600_NS18transform_iteratorI9row_indexNS8_17counting_iteratorImNS8_11use_defaultESC_SC_EESC_SC_EEjNS1_16block_id_wrapperIjLb1EEEEEvT_jjPNSH_10value_typeET0_PNSt15iterator_traitsISK_E10value_typeEmT1_T2_,comdat
.Lfunc_end34:
	.size	_ZN7rocprim17ROCPRIM_400000_NS6detail30init_device_scan_by_key_kernelINS1_19lookback_scan_stateINS0_5tupleIJibEEELb0ELb1EEEN6thrust23THRUST_200600_302600_NS18transform_iteratorI9row_indexNS8_17counting_iteratorImNS8_11use_defaultESC_SC_EESC_SC_EEjNS1_16block_id_wrapperIjLb1EEEEEvT_jjPNSH_10value_typeET0_PNSt15iterator_traitsISK_E10value_typeEmT1_T2_, .Lfunc_end34-_ZN7rocprim17ROCPRIM_400000_NS6detail30init_device_scan_by_key_kernelINS1_19lookback_scan_stateINS0_5tupleIJibEEELb0ELb1EEEN6thrust23THRUST_200600_302600_NS18transform_iteratorI9row_indexNS8_17counting_iteratorImNS8_11use_defaultESC_SC_EESC_SC_EEjNS1_16block_id_wrapperIjLb1EEEEEvT_jjPNSH_10value_typeET0_PNSt15iterator_traitsISK_E10value_typeEmT1_T2_
                                        ; -- End function
	.set _ZN7rocprim17ROCPRIM_400000_NS6detail30init_device_scan_by_key_kernelINS1_19lookback_scan_stateINS0_5tupleIJibEEELb0ELb1EEEN6thrust23THRUST_200600_302600_NS18transform_iteratorI9row_indexNS8_17counting_iteratorImNS8_11use_defaultESC_SC_EESC_SC_EEjNS1_16block_id_wrapperIjLb1EEEEEvT_jjPNSH_10value_typeET0_PNSt15iterator_traitsISK_E10value_typeEmT1_T2_.num_vgpr, 20
	.set _ZN7rocprim17ROCPRIM_400000_NS6detail30init_device_scan_by_key_kernelINS1_19lookback_scan_stateINS0_5tupleIJibEEELb0ELb1EEEN6thrust23THRUST_200600_302600_NS18transform_iteratorI9row_indexNS8_17counting_iteratorImNS8_11use_defaultESC_SC_EESC_SC_EEjNS1_16block_id_wrapperIjLb1EEEEEvT_jjPNSH_10value_typeET0_PNSt15iterator_traitsISK_E10value_typeEmT1_T2_.num_agpr, 0
	.set _ZN7rocprim17ROCPRIM_400000_NS6detail30init_device_scan_by_key_kernelINS1_19lookback_scan_stateINS0_5tupleIJibEEELb0ELb1EEEN6thrust23THRUST_200600_302600_NS18transform_iteratorI9row_indexNS8_17counting_iteratorImNS8_11use_defaultESC_SC_EESC_SC_EEjNS1_16block_id_wrapperIjLb1EEEEEvT_jjPNSH_10value_typeET0_PNSt15iterator_traitsISK_E10value_typeEmT1_T2_.numbered_sgpr, 21
	.set _ZN7rocprim17ROCPRIM_400000_NS6detail30init_device_scan_by_key_kernelINS1_19lookback_scan_stateINS0_5tupleIJibEEELb0ELb1EEEN6thrust23THRUST_200600_302600_NS18transform_iteratorI9row_indexNS8_17counting_iteratorImNS8_11use_defaultESC_SC_EESC_SC_EEjNS1_16block_id_wrapperIjLb1EEEEEvT_jjPNSH_10value_typeET0_PNSt15iterator_traitsISK_E10value_typeEmT1_T2_.num_named_barrier, 0
	.set _ZN7rocprim17ROCPRIM_400000_NS6detail30init_device_scan_by_key_kernelINS1_19lookback_scan_stateINS0_5tupleIJibEEELb0ELb1EEEN6thrust23THRUST_200600_302600_NS18transform_iteratorI9row_indexNS8_17counting_iteratorImNS8_11use_defaultESC_SC_EESC_SC_EEjNS1_16block_id_wrapperIjLb1EEEEEvT_jjPNSH_10value_typeET0_PNSt15iterator_traitsISK_E10value_typeEmT1_T2_.private_seg_size, 0
	.set _ZN7rocprim17ROCPRIM_400000_NS6detail30init_device_scan_by_key_kernelINS1_19lookback_scan_stateINS0_5tupleIJibEEELb0ELb1EEEN6thrust23THRUST_200600_302600_NS18transform_iteratorI9row_indexNS8_17counting_iteratorImNS8_11use_defaultESC_SC_EESC_SC_EEjNS1_16block_id_wrapperIjLb1EEEEEvT_jjPNSH_10value_typeET0_PNSt15iterator_traitsISK_E10value_typeEmT1_T2_.uses_vcc, 1
	.set _ZN7rocprim17ROCPRIM_400000_NS6detail30init_device_scan_by_key_kernelINS1_19lookback_scan_stateINS0_5tupleIJibEEELb0ELb1EEEN6thrust23THRUST_200600_302600_NS18transform_iteratorI9row_indexNS8_17counting_iteratorImNS8_11use_defaultESC_SC_EESC_SC_EEjNS1_16block_id_wrapperIjLb1EEEEEvT_jjPNSH_10value_typeET0_PNSt15iterator_traitsISK_E10value_typeEmT1_T2_.uses_flat_scratch, 0
	.set _ZN7rocprim17ROCPRIM_400000_NS6detail30init_device_scan_by_key_kernelINS1_19lookback_scan_stateINS0_5tupleIJibEEELb0ELb1EEEN6thrust23THRUST_200600_302600_NS18transform_iteratorI9row_indexNS8_17counting_iteratorImNS8_11use_defaultESC_SC_EESC_SC_EEjNS1_16block_id_wrapperIjLb1EEEEEvT_jjPNSH_10value_typeET0_PNSt15iterator_traitsISK_E10value_typeEmT1_T2_.has_dyn_sized_stack, 0
	.set _ZN7rocprim17ROCPRIM_400000_NS6detail30init_device_scan_by_key_kernelINS1_19lookback_scan_stateINS0_5tupleIJibEEELb0ELb1EEEN6thrust23THRUST_200600_302600_NS18transform_iteratorI9row_indexNS8_17counting_iteratorImNS8_11use_defaultESC_SC_EESC_SC_EEjNS1_16block_id_wrapperIjLb1EEEEEvT_jjPNSH_10value_typeET0_PNSt15iterator_traitsISK_E10value_typeEmT1_T2_.has_recursion, 0
	.set _ZN7rocprim17ROCPRIM_400000_NS6detail30init_device_scan_by_key_kernelINS1_19lookback_scan_stateINS0_5tupleIJibEEELb0ELb1EEEN6thrust23THRUST_200600_302600_NS18transform_iteratorI9row_indexNS8_17counting_iteratorImNS8_11use_defaultESC_SC_EESC_SC_EEjNS1_16block_id_wrapperIjLb1EEEEEvT_jjPNSH_10value_typeET0_PNSt15iterator_traitsISK_E10value_typeEmT1_T2_.has_indirect_call, 0
	.section	.AMDGPU.csdata,"",@progbits
; Kernel info:
; codeLenInByte = 1348
; TotalNumSgprs: 23
; NumVgprs: 20
; ScratchSize: 0
; MemoryBound: 0
; FloatMode: 240
; IeeeMode: 1
; LDSByteSize: 0 bytes/workgroup (compile time only)
; SGPRBlocks: 0
; VGPRBlocks: 2
; NumSGPRsForWavesPerEU: 23
; NumVGPRsForWavesPerEU: 20
; Occupancy: 16
; WaveLimiterHint : 0
; COMPUTE_PGM_RSRC2:SCRATCH_EN: 0
; COMPUTE_PGM_RSRC2:USER_SGPR: 6
; COMPUTE_PGM_RSRC2:TRAP_HANDLER: 0
; COMPUTE_PGM_RSRC2:TGID_X_EN: 1
; COMPUTE_PGM_RSRC2:TGID_Y_EN: 0
; COMPUTE_PGM_RSRC2:TGID_Z_EN: 0
; COMPUTE_PGM_RSRC2:TIDIG_COMP_CNT: 0
	.section	.text._ZN7rocprim17ROCPRIM_400000_NS6detail30init_device_scan_by_key_kernelINS1_19lookback_scan_stateINS0_5tupleIJibEEELb0ELb1EEENS1_16block_id_wrapperIjLb1EEEEEvT_jjPNS9_10value_typeET0_,"axG",@progbits,_ZN7rocprim17ROCPRIM_400000_NS6detail30init_device_scan_by_key_kernelINS1_19lookback_scan_stateINS0_5tupleIJibEEELb0ELb1EEENS1_16block_id_wrapperIjLb1EEEEEvT_jjPNS9_10value_typeET0_,comdat
	.protected	_ZN7rocprim17ROCPRIM_400000_NS6detail30init_device_scan_by_key_kernelINS1_19lookback_scan_stateINS0_5tupleIJibEEELb0ELb1EEENS1_16block_id_wrapperIjLb1EEEEEvT_jjPNS9_10value_typeET0_ ; -- Begin function _ZN7rocprim17ROCPRIM_400000_NS6detail30init_device_scan_by_key_kernelINS1_19lookback_scan_stateINS0_5tupleIJibEEELb0ELb1EEENS1_16block_id_wrapperIjLb1EEEEEvT_jjPNS9_10value_typeET0_
	.globl	_ZN7rocprim17ROCPRIM_400000_NS6detail30init_device_scan_by_key_kernelINS1_19lookback_scan_stateINS0_5tupleIJibEEELb0ELb1EEENS1_16block_id_wrapperIjLb1EEEEEvT_jjPNS9_10value_typeET0_
	.p2align	8
	.type	_ZN7rocprim17ROCPRIM_400000_NS6detail30init_device_scan_by_key_kernelINS1_19lookback_scan_stateINS0_5tupleIJibEEELb0ELb1EEENS1_16block_id_wrapperIjLb1EEEEEvT_jjPNS9_10value_typeET0_,@function
_ZN7rocprim17ROCPRIM_400000_NS6detail30init_device_scan_by_key_kernelINS1_19lookback_scan_stateINS0_5tupleIJibEEELb0ELb1EEENS1_16block_id_wrapperIjLb1EEEEEvT_jjPNS9_10value_typeET0_: ; @_ZN7rocprim17ROCPRIM_400000_NS6detail30init_device_scan_by_key_kernelINS1_19lookback_scan_stateINS0_5tupleIJibEEELb0ELb1EEENS1_16block_id_wrapperIjLb1EEEEEvT_jjPNS9_10value_typeET0_
; %bb.0:
	s_clause 0x1
	s_load_dword s0, s[4:5], 0x2c
	s_load_dwordx8 s[8:15], s[4:5], 0x0
	s_waitcnt lgkmcnt(0)
	s_and_b32 s0, s0, 0xffff
	s_cmp_eq_u64 s[12:13], 0
	v_mad_u64_u32 v[0:1], null, s6, s0, v[0:1]
	s_cbranch_scc1 .LBB35_8
; %bb.1:
	s_cmp_lt_u32 s11, s10
	s_mov_b32 s1, 0
	s_cselect_b32 s0, s11, 0
	s_mov_b32 s2, exec_lo
	v_cmpx_eq_u32_e64 s0, v0
	s_cbranch_execz .LBB35_7
; %bb.2:
	s_add_i32 s0, s11, 32
	v_mov_b32_e32 v5, 0
	s_lshl_b64 s[0:1], s[0:1], 4
	s_mov_b32 s3, exec_lo
	s_add_u32 s0, s8, s0
	s_addc_u32 s1, s9, s1
	v_mov_b32_e32 v2, s1
	v_mov_b32_e32 v1, s0
	;;#ASMSTART
	global_load_dwordx4 v[1:4], v[1:2] off glc dlc	
s_waitcnt vmcnt(0)
	;;#ASMEND
	v_and_b32_e32 v4, 0xff, v3
	v_cmpx_eq_u64_e32 0, v[4:5]
	s_cbranch_execz .LBB35_6
; %bb.3:
	v_mov_b32_e32 v7, s1
	v_mov_b32_e32 v6, s0
	s_mov_b32 s0, 0
.LBB35_4:                               ; =>This Inner Loop Header: Depth=1
	;;#ASMSTART
	global_load_dwordx4 v[1:4], v[6:7] off glc dlc	
s_waitcnt vmcnt(0)
	;;#ASMEND
	v_and_b32_e32 v4, 0xff, v3
	v_cmp_ne_u64_e32 vcc_lo, 0, v[4:5]
	s_or_b32 s0, vcc_lo, s0
	s_andn2_b32 exec_lo, exec_lo, s0
	s_cbranch_execnz .LBB35_4
; %bb.5:
	s_or_b32 exec_lo, exec_lo, s0
.LBB35_6:
	s_or_b32 exec_lo, exec_lo, s3
	v_mov_b32_e32 v3, 0
	global_store_dword v3, v1, s[12:13]
	global_store_byte v3, v2, s[12:13] offset:4
.LBB35_7:
	s_or_b32 exec_lo, exec_lo, s2
.LBB35_8:
	s_mov_b32 s0, exec_lo
	v_cmpx_eq_u32_e32 0, v0
	s_cbranch_execz .LBB35_10
; %bb.9:
	v_mov_b32_e32 v1, 0
	global_store_dword v1, v1, s[14:15]
.LBB35_10:
	s_or_b32 exec_lo, exec_lo, s0
	s_mov_b32 s0, exec_lo
	v_cmpx_gt_u32_e64 s10, v0
	s_cbranch_execz .LBB35_12
; %bb.11:
	v_add_nc_u32_e32 v1, 32, v0
	v_mov_b32_e32 v2, 0
	v_lshlrev_b64 v[4:5], 4, v[1:2]
	v_mov_b32_e32 v1, v2
	v_mov_b32_e32 v3, v2
	v_add_co_u32 v6, vcc_lo, s8, v4
	v_add_co_ci_u32_e64 v7, null, s9, v5, vcc_lo
	v_mov_b32_e32 v4, v2
	global_store_dwordx4 v[6:7], v[1:4], off
.LBB35_12:
	s_or_b32 exec_lo, exec_lo, s0
	s_mov_b32 s0, exec_lo
	v_cmpx_gt_u32_e32 32, v0
	s_cbranch_execz .LBB35_14
; %bb.13:
	v_mov_b32_e32 v1, 0
	v_mov_b32_e32 v2, 0xff
	v_lshlrev_b64 v[3:4], 4, v[0:1]
	v_mov_b32_e32 v0, v1
	v_add_co_u32 v5, vcc_lo, s8, v3
	v_add_co_ci_u32_e64 v6, null, s9, v4, vcc_lo
	v_mov_b32_e32 v3, v1
	global_store_dwordx4 v[5:6], v[0:3], off
.LBB35_14:
	s_endpgm
	.section	.rodata,"a",@progbits
	.p2align	6, 0x0
	.amdhsa_kernel _ZN7rocprim17ROCPRIM_400000_NS6detail30init_device_scan_by_key_kernelINS1_19lookback_scan_stateINS0_5tupleIJibEEELb0ELb1EEENS1_16block_id_wrapperIjLb1EEEEEvT_jjPNS9_10value_typeET0_
		.amdhsa_group_segment_fixed_size 0
		.amdhsa_private_segment_fixed_size 0
		.amdhsa_kernarg_size 288
		.amdhsa_user_sgpr_count 6
		.amdhsa_user_sgpr_private_segment_buffer 1
		.amdhsa_user_sgpr_dispatch_ptr 0
		.amdhsa_user_sgpr_queue_ptr 0
		.amdhsa_user_sgpr_kernarg_segment_ptr 1
		.amdhsa_user_sgpr_dispatch_id 0
		.amdhsa_user_sgpr_flat_scratch_init 0
		.amdhsa_user_sgpr_private_segment_size 0
		.amdhsa_wavefront_size32 1
		.amdhsa_uses_dynamic_stack 0
		.amdhsa_system_sgpr_private_segment_wavefront_offset 0
		.amdhsa_system_sgpr_workgroup_id_x 1
		.amdhsa_system_sgpr_workgroup_id_y 0
		.amdhsa_system_sgpr_workgroup_id_z 0
		.amdhsa_system_sgpr_workgroup_info 0
		.amdhsa_system_vgpr_workitem_id 0
		.amdhsa_next_free_vgpr 8
		.amdhsa_next_free_sgpr 16
		.amdhsa_reserve_vcc 1
		.amdhsa_reserve_flat_scratch 0
		.amdhsa_float_round_mode_32 0
		.amdhsa_float_round_mode_16_64 0
		.amdhsa_float_denorm_mode_32 3
		.amdhsa_float_denorm_mode_16_64 3
		.amdhsa_dx10_clamp 1
		.amdhsa_ieee_mode 1
		.amdhsa_fp16_overflow 0
		.amdhsa_workgroup_processor_mode 1
		.amdhsa_memory_ordered 1
		.amdhsa_forward_progress 1
		.amdhsa_shared_vgpr_count 0
		.amdhsa_exception_fp_ieee_invalid_op 0
		.amdhsa_exception_fp_denorm_src 0
		.amdhsa_exception_fp_ieee_div_zero 0
		.amdhsa_exception_fp_ieee_overflow 0
		.amdhsa_exception_fp_ieee_underflow 0
		.amdhsa_exception_fp_ieee_inexact 0
		.amdhsa_exception_int_div_zero 0
	.end_amdhsa_kernel
	.section	.text._ZN7rocprim17ROCPRIM_400000_NS6detail30init_device_scan_by_key_kernelINS1_19lookback_scan_stateINS0_5tupleIJibEEELb0ELb1EEENS1_16block_id_wrapperIjLb1EEEEEvT_jjPNS9_10value_typeET0_,"axG",@progbits,_ZN7rocprim17ROCPRIM_400000_NS6detail30init_device_scan_by_key_kernelINS1_19lookback_scan_stateINS0_5tupleIJibEEELb0ELb1EEENS1_16block_id_wrapperIjLb1EEEEEvT_jjPNS9_10value_typeET0_,comdat
.Lfunc_end35:
	.size	_ZN7rocprim17ROCPRIM_400000_NS6detail30init_device_scan_by_key_kernelINS1_19lookback_scan_stateINS0_5tupleIJibEEELb0ELb1EEENS1_16block_id_wrapperIjLb1EEEEEvT_jjPNS9_10value_typeET0_, .Lfunc_end35-_ZN7rocprim17ROCPRIM_400000_NS6detail30init_device_scan_by_key_kernelINS1_19lookback_scan_stateINS0_5tupleIJibEEELb0ELb1EEENS1_16block_id_wrapperIjLb1EEEEEvT_jjPNS9_10value_typeET0_
                                        ; -- End function
	.set _ZN7rocprim17ROCPRIM_400000_NS6detail30init_device_scan_by_key_kernelINS1_19lookback_scan_stateINS0_5tupleIJibEEELb0ELb1EEENS1_16block_id_wrapperIjLb1EEEEEvT_jjPNS9_10value_typeET0_.num_vgpr, 8
	.set _ZN7rocprim17ROCPRIM_400000_NS6detail30init_device_scan_by_key_kernelINS1_19lookback_scan_stateINS0_5tupleIJibEEELb0ELb1EEENS1_16block_id_wrapperIjLb1EEEEEvT_jjPNS9_10value_typeET0_.num_agpr, 0
	.set _ZN7rocprim17ROCPRIM_400000_NS6detail30init_device_scan_by_key_kernelINS1_19lookback_scan_stateINS0_5tupleIJibEEELb0ELb1EEENS1_16block_id_wrapperIjLb1EEEEEvT_jjPNS9_10value_typeET0_.numbered_sgpr, 16
	.set _ZN7rocprim17ROCPRIM_400000_NS6detail30init_device_scan_by_key_kernelINS1_19lookback_scan_stateINS0_5tupleIJibEEELb0ELb1EEENS1_16block_id_wrapperIjLb1EEEEEvT_jjPNS9_10value_typeET0_.num_named_barrier, 0
	.set _ZN7rocprim17ROCPRIM_400000_NS6detail30init_device_scan_by_key_kernelINS1_19lookback_scan_stateINS0_5tupleIJibEEELb0ELb1EEENS1_16block_id_wrapperIjLb1EEEEEvT_jjPNS9_10value_typeET0_.private_seg_size, 0
	.set _ZN7rocprim17ROCPRIM_400000_NS6detail30init_device_scan_by_key_kernelINS1_19lookback_scan_stateINS0_5tupleIJibEEELb0ELb1EEENS1_16block_id_wrapperIjLb1EEEEEvT_jjPNS9_10value_typeET0_.uses_vcc, 1
	.set _ZN7rocprim17ROCPRIM_400000_NS6detail30init_device_scan_by_key_kernelINS1_19lookback_scan_stateINS0_5tupleIJibEEELb0ELb1EEENS1_16block_id_wrapperIjLb1EEEEEvT_jjPNS9_10value_typeET0_.uses_flat_scratch, 0
	.set _ZN7rocprim17ROCPRIM_400000_NS6detail30init_device_scan_by_key_kernelINS1_19lookback_scan_stateINS0_5tupleIJibEEELb0ELb1EEENS1_16block_id_wrapperIjLb1EEEEEvT_jjPNS9_10value_typeET0_.has_dyn_sized_stack, 0
	.set _ZN7rocprim17ROCPRIM_400000_NS6detail30init_device_scan_by_key_kernelINS1_19lookback_scan_stateINS0_5tupleIJibEEELb0ELb1EEENS1_16block_id_wrapperIjLb1EEEEEvT_jjPNS9_10value_typeET0_.has_recursion, 0
	.set _ZN7rocprim17ROCPRIM_400000_NS6detail30init_device_scan_by_key_kernelINS1_19lookback_scan_stateINS0_5tupleIJibEEELb0ELb1EEENS1_16block_id_wrapperIjLb1EEEEEvT_jjPNS9_10value_typeET0_.has_indirect_call, 0
	.section	.AMDGPU.csdata,"",@progbits
; Kernel info:
; codeLenInByte = 440
; TotalNumSgprs: 18
; NumVgprs: 8
; ScratchSize: 0
; MemoryBound: 0
; FloatMode: 240
; IeeeMode: 1
; LDSByteSize: 0 bytes/workgroup (compile time only)
; SGPRBlocks: 0
; VGPRBlocks: 0
; NumSGPRsForWavesPerEU: 18
; NumVGPRsForWavesPerEU: 8
; Occupancy: 16
; WaveLimiterHint : 0
; COMPUTE_PGM_RSRC2:SCRATCH_EN: 0
; COMPUTE_PGM_RSRC2:USER_SGPR: 6
; COMPUTE_PGM_RSRC2:TRAP_HANDLER: 0
; COMPUTE_PGM_RSRC2:TGID_X_EN: 1
; COMPUTE_PGM_RSRC2:TGID_Y_EN: 0
; COMPUTE_PGM_RSRC2:TGID_Z_EN: 0
; COMPUTE_PGM_RSRC2:TIDIG_COMP_CNT: 0
	.section	.text._ZN7rocprim17ROCPRIM_400000_NS6detail17trampoline_kernelINS0_14default_configENS1_27scan_by_key_config_selectorImiEEZZNS1_16scan_by_key_implILNS1_25lookback_scan_determinismE0ELb0ES3_N6thrust23THRUST_200600_302600_NS18transform_iteratorI9row_indexNS9_17counting_iteratorImNS9_11use_defaultESD_SD_EESD_SD_EENS9_6detail15normal_iteratorINS9_10device_ptrIiEEEESK_iNS9_4plusIvEENS9_8equal_toIvEEiEE10hipError_tPvRmT2_T3_T4_T5_mT6_T7_P12ihipStream_tbENKUlT_T0_E_clISt17integral_constantIbLb0EES14_IbLb1EEEEDaS10_S11_EUlS10_E_NS1_11comp_targetILNS1_3genE0ELNS1_11target_archE4294967295ELNS1_3gpuE0ELNS1_3repE0EEENS1_30default_config_static_selectorELNS0_4arch9wavefront6targetE0EEEvT1_,"axG",@progbits,_ZN7rocprim17ROCPRIM_400000_NS6detail17trampoline_kernelINS0_14default_configENS1_27scan_by_key_config_selectorImiEEZZNS1_16scan_by_key_implILNS1_25lookback_scan_determinismE0ELb0ES3_N6thrust23THRUST_200600_302600_NS18transform_iteratorI9row_indexNS9_17counting_iteratorImNS9_11use_defaultESD_SD_EESD_SD_EENS9_6detail15normal_iteratorINS9_10device_ptrIiEEEESK_iNS9_4plusIvEENS9_8equal_toIvEEiEE10hipError_tPvRmT2_T3_T4_T5_mT6_T7_P12ihipStream_tbENKUlT_T0_E_clISt17integral_constantIbLb0EES14_IbLb1EEEEDaS10_S11_EUlS10_E_NS1_11comp_targetILNS1_3genE0ELNS1_11target_archE4294967295ELNS1_3gpuE0ELNS1_3repE0EEENS1_30default_config_static_selectorELNS0_4arch9wavefront6targetE0EEEvT1_,comdat
	.protected	_ZN7rocprim17ROCPRIM_400000_NS6detail17trampoline_kernelINS0_14default_configENS1_27scan_by_key_config_selectorImiEEZZNS1_16scan_by_key_implILNS1_25lookback_scan_determinismE0ELb0ES3_N6thrust23THRUST_200600_302600_NS18transform_iteratorI9row_indexNS9_17counting_iteratorImNS9_11use_defaultESD_SD_EESD_SD_EENS9_6detail15normal_iteratorINS9_10device_ptrIiEEEESK_iNS9_4plusIvEENS9_8equal_toIvEEiEE10hipError_tPvRmT2_T3_T4_T5_mT6_T7_P12ihipStream_tbENKUlT_T0_E_clISt17integral_constantIbLb0EES14_IbLb1EEEEDaS10_S11_EUlS10_E_NS1_11comp_targetILNS1_3genE0ELNS1_11target_archE4294967295ELNS1_3gpuE0ELNS1_3repE0EEENS1_30default_config_static_selectorELNS0_4arch9wavefront6targetE0EEEvT1_ ; -- Begin function _ZN7rocprim17ROCPRIM_400000_NS6detail17trampoline_kernelINS0_14default_configENS1_27scan_by_key_config_selectorImiEEZZNS1_16scan_by_key_implILNS1_25lookback_scan_determinismE0ELb0ES3_N6thrust23THRUST_200600_302600_NS18transform_iteratorI9row_indexNS9_17counting_iteratorImNS9_11use_defaultESD_SD_EESD_SD_EENS9_6detail15normal_iteratorINS9_10device_ptrIiEEEESK_iNS9_4plusIvEENS9_8equal_toIvEEiEE10hipError_tPvRmT2_T3_T4_T5_mT6_T7_P12ihipStream_tbENKUlT_T0_E_clISt17integral_constantIbLb0EES14_IbLb1EEEEDaS10_S11_EUlS10_E_NS1_11comp_targetILNS1_3genE0ELNS1_11target_archE4294967295ELNS1_3gpuE0ELNS1_3repE0EEENS1_30default_config_static_selectorELNS0_4arch9wavefront6targetE0EEEvT1_
	.globl	_ZN7rocprim17ROCPRIM_400000_NS6detail17trampoline_kernelINS0_14default_configENS1_27scan_by_key_config_selectorImiEEZZNS1_16scan_by_key_implILNS1_25lookback_scan_determinismE0ELb0ES3_N6thrust23THRUST_200600_302600_NS18transform_iteratorI9row_indexNS9_17counting_iteratorImNS9_11use_defaultESD_SD_EESD_SD_EENS9_6detail15normal_iteratorINS9_10device_ptrIiEEEESK_iNS9_4plusIvEENS9_8equal_toIvEEiEE10hipError_tPvRmT2_T3_T4_T5_mT6_T7_P12ihipStream_tbENKUlT_T0_E_clISt17integral_constantIbLb0EES14_IbLb1EEEEDaS10_S11_EUlS10_E_NS1_11comp_targetILNS1_3genE0ELNS1_11target_archE4294967295ELNS1_3gpuE0ELNS1_3repE0EEENS1_30default_config_static_selectorELNS0_4arch9wavefront6targetE0EEEvT1_
	.p2align	8
	.type	_ZN7rocprim17ROCPRIM_400000_NS6detail17trampoline_kernelINS0_14default_configENS1_27scan_by_key_config_selectorImiEEZZNS1_16scan_by_key_implILNS1_25lookback_scan_determinismE0ELb0ES3_N6thrust23THRUST_200600_302600_NS18transform_iteratorI9row_indexNS9_17counting_iteratorImNS9_11use_defaultESD_SD_EESD_SD_EENS9_6detail15normal_iteratorINS9_10device_ptrIiEEEESK_iNS9_4plusIvEENS9_8equal_toIvEEiEE10hipError_tPvRmT2_T3_T4_T5_mT6_T7_P12ihipStream_tbENKUlT_T0_E_clISt17integral_constantIbLb0EES14_IbLb1EEEEDaS10_S11_EUlS10_E_NS1_11comp_targetILNS1_3genE0ELNS1_11target_archE4294967295ELNS1_3gpuE0ELNS1_3repE0EEENS1_30default_config_static_selectorELNS0_4arch9wavefront6targetE0EEEvT1_,@function
_ZN7rocprim17ROCPRIM_400000_NS6detail17trampoline_kernelINS0_14default_configENS1_27scan_by_key_config_selectorImiEEZZNS1_16scan_by_key_implILNS1_25lookback_scan_determinismE0ELb0ES3_N6thrust23THRUST_200600_302600_NS18transform_iteratorI9row_indexNS9_17counting_iteratorImNS9_11use_defaultESD_SD_EESD_SD_EENS9_6detail15normal_iteratorINS9_10device_ptrIiEEEESK_iNS9_4plusIvEENS9_8equal_toIvEEiEE10hipError_tPvRmT2_T3_T4_T5_mT6_T7_P12ihipStream_tbENKUlT_T0_E_clISt17integral_constantIbLb0EES14_IbLb1EEEEDaS10_S11_EUlS10_E_NS1_11comp_targetILNS1_3genE0ELNS1_11target_archE4294967295ELNS1_3gpuE0ELNS1_3repE0EEENS1_30default_config_static_selectorELNS0_4arch9wavefront6targetE0EEEvT1_: ; @_ZN7rocprim17ROCPRIM_400000_NS6detail17trampoline_kernelINS0_14default_configENS1_27scan_by_key_config_selectorImiEEZZNS1_16scan_by_key_implILNS1_25lookback_scan_determinismE0ELb0ES3_N6thrust23THRUST_200600_302600_NS18transform_iteratorI9row_indexNS9_17counting_iteratorImNS9_11use_defaultESD_SD_EESD_SD_EENS9_6detail15normal_iteratorINS9_10device_ptrIiEEEESK_iNS9_4plusIvEENS9_8equal_toIvEEiEE10hipError_tPvRmT2_T3_T4_T5_mT6_T7_P12ihipStream_tbENKUlT_T0_E_clISt17integral_constantIbLb0EES14_IbLb1EEEEDaS10_S11_EUlS10_E_NS1_11comp_targetILNS1_3genE0ELNS1_11target_archE4294967295ELNS1_3gpuE0ELNS1_3repE0EEENS1_30default_config_static_selectorELNS0_4arch9wavefront6targetE0EEEvT1_
; %bb.0:
	.section	.rodata,"a",@progbits
	.p2align	6, 0x0
	.amdhsa_kernel _ZN7rocprim17ROCPRIM_400000_NS6detail17trampoline_kernelINS0_14default_configENS1_27scan_by_key_config_selectorImiEEZZNS1_16scan_by_key_implILNS1_25lookback_scan_determinismE0ELb0ES3_N6thrust23THRUST_200600_302600_NS18transform_iteratorI9row_indexNS9_17counting_iteratorImNS9_11use_defaultESD_SD_EESD_SD_EENS9_6detail15normal_iteratorINS9_10device_ptrIiEEEESK_iNS9_4plusIvEENS9_8equal_toIvEEiEE10hipError_tPvRmT2_T3_T4_T5_mT6_T7_P12ihipStream_tbENKUlT_T0_E_clISt17integral_constantIbLb0EES14_IbLb1EEEEDaS10_S11_EUlS10_E_NS1_11comp_targetILNS1_3genE0ELNS1_11target_archE4294967295ELNS1_3gpuE0ELNS1_3repE0EEENS1_30default_config_static_selectorELNS0_4arch9wavefront6targetE0EEEvT1_
		.amdhsa_group_segment_fixed_size 0
		.amdhsa_private_segment_fixed_size 0
		.amdhsa_kernarg_size 120
		.amdhsa_user_sgpr_count 6
		.amdhsa_user_sgpr_private_segment_buffer 1
		.amdhsa_user_sgpr_dispatch_ptr 0
		.amdhsa_user_sgpr_queue_ptr 0
		.amdhsa_user_sgpr_kernarg_segment_ptr 1
		.amdhsa_user_sgpr_dispatch_id 0
		.amdhsa_user_sgpr_flat_scratch_init 0
		.amdhsa_user_sgpr_private_segment_size 0
		.amdhsa_wavefront_size32 1
		.amdhsa_uses_dynamic_stack 0
		.amdhsa_system_sgpr_private_segment_wavefront_offset 0
		.amdhsa_system_sgpr_workgroup_id_x 1
		.amdhsa_system_sgpr_workgroup_id_y 0
		.amdhsa_system_sgpr_workgroup_id_z 0
		.amdhsa_system_sgpr_workgroup_info 0
		.amdhsa_system_vgpr_workitem_id 0
		.amdhsa_next_free_vgpr 1
		.amdhsa_next_free_sgpr 1
		.amdhsa_reserve_vcc 0
		.amdhsa_reserve_flat_scratch 0
		.amdhsa_float_round_mode_32 0
		.amdhsa_float_round_mode_16_64 0
		.amdhsa_float_denorm_mode_32 3
		.amdhsa_float_denorm_mode_16_64 3
		.amdhsa_dx10_clamp 1
		.amdhsa_ieee_mode 1
		.amdhsa_fp16_overflow 0
		.amdhsa_workgroup_processor_mode 1
		.amdhsa_memory_ordered 1
		.amdhsa_forward_progress 1
		.amdhsa_shared_vgpr_count 0
		.amdhsa_exception_fp_ieee_invalid_op 0
		.amdhsa_exception_fp_denorm_src 0
		.amdhsa_exception_fp_ieee_div_zero 0
		.amdhsa_exception_fp_ieee_overflow 0
		.amdhsa_exception_fp_ieee_underflow 0
		.amdhsa_exception_fp_ieee_inexact 0
		.amdhsa_exception_int_div_zero 0
	.end_amdhsa_kernel
	.section	.text._ZN7rocprim17ROCPRIM_400000_NS6detail17trampoline_kernelINS0_14default_configENS1_27scan_by_key_config_selectorImiEEZZNS1_16scan_by_key_implILNS1_25lookback_scan_determinismE0ELb0ES3_N6thrust23THRUST_200600_302600_NS18transform_iteratorI9row_indexNS9_17counting_iteratorImNS9_11use_defaultESD_SD_EESD_SD_EENS9_6detail15normal_iteratorINS9_10device_ptrIiEEEESK_iNS9_4plusIvEENS9_8equal_toIvEEiEE10hipError_tPvRmT2_T3_T4_T5_mT6_T7_P12ihipStream_tbENKUlT_T0_E_clISt17integral_constantIbLb0EES14_IbLb1EEEEDaS10_S11_EUlS10_E_NS1_11comp_targetILNS1_3genE0ELNS1_11target_archE4294967295ELNS1_3gpuE0ELNS1_3repE0EEENS1_30default_config_static_selectorELNS0_4arch9wavefront6targetE0EEEvT1_,"axG",@progbits,_ZN7rocprim17ROCPRIM_400000_NS6detail17trampoline_kernelINS0_14default_configENS1_27scan_by_key_config_selectorImiEEZZNS1_16scan_by_key_implILNS1_25lookback_scan_determinismE0ELb0ES3_N6thrust23THRUST_200600_302600_NS18transform_iteratorI9row_indexNS9_17counting_iteratorImNS9_11use_defaultESD_SD_EESD_SD_EENS9_6detail15normal_iteratorINS9_10device_ptrIiEEEESK_iNS9_4plusIvEENS9_8equal_toIvEEiEE10hipError_tPvRmT2_T3_T4_T5_mT6_T7_P12ihipStream_tbENKUlT_T0_E_clISt17integral_constantIbLb0EES14_IbLb1EEEEDaS10_S11_EUlS10_E_NS1_11comp_targetILNS1_3genE0ELNS1_11target_archE4294967295ELNS1_3gpuE0ELNS1_3repE0EEENS1_30default_config_static_selectorELNS0_4arch9wavefront6targetE0EEEvT1_,comdat
.Lfunc_end36:
	.size	_ZN7rocprim17ROCPRIM_400000_NS6detail17trampoline_kernelINS0_14default_configENS1_27scan_by_key_config_selectorImiEEZZNS1_16scan_by_key_implILNS1_25lookback_scan_determinismE0ELb0ES3_N6thrust23THRUST_200600_302600_NS18transform_iteratorI9row_indexNS9_17counting_iteratorImNS9_11use_defaultESD_SD_EESD_SD_EENS9_6detail15normal_iteratorINS9_10device_ptrIiEEEESK_iNS9_4plusIvEENS9_8equal_toIvEEiEE10hipError_tPvRmT2_T3_T4_T5_mT6_T7_P12ihipStream_tbENKUlT_T0_E_clISt17integral_constantIbLb0EES14_IbLb1EEEEDaS10_S11_EUlS10_E_NS1_11comp_targetILNS1_3genE0ELNS1_11target_archE4294967295ELNS1_3gpuE0ELNS1_3repE0EEENS1_30default_config_static_selectorELNS0_4arch9wavefront6targetE0EEEvT1_, .Lfunc_end36-_ZN7rocprim17ROCPRIM_400000_NS6detail17trampoline_kernelINS0_14default_configENS1_27scan_by_key_config_selectorImiEEZZNS1_16scan_by_key_implILNS1_25lookback_scan_determinismE0ELb0ES3_N6thrust23THRUST_200600_302600_NS18transform_iteratorI9row_indexNS9_17counting_iteratorImNS9_11use_defaultESD_SD_EESD_SD_EENS9_6detail15normal_iteratorINS9_10device_ptrIiEEEESK_iNS9_4plusIvEENS9_8equal_toIvEEiEE10hipError_tPvRmT2_T3_T4_T5_mT6_T7_P12ihipStream_tbENKUlT_T0_E_clISt17integral_constantIbLb0EES14_IbLb1EEEEDaS10_S11_EUlS10_E_NS1_11comp_targetILNS1_3genE0ELNS1_11target_archE4294967295ELNS1_3gpuE0ELNS1_3repE0EEENS1_30default_config_static_selectorELNS0_4arch9wavefront6targetE0EEEvT1_
                                        ; -- End function
	.set _ZN7rocprim17ROCPRIM_400000_NS6detail17trampoline_kernelINS0_14default_configENS1_27scan_by_key_config_selectorImiEEZZNS1_16scan_by_key_implILNS1_25lookback_scan_determinismE0ELb0ES3_N6thrust23THRUST_200600_302600_NS18transform_iteratorI9row_indexNS9_17counting_iteratorImNS9_11use_defaultESD_SD_EESD_SD_EENS9_6detail15normal_iteratorINS9_10device_ptrIiEEEESK_iNS9_4plusIvEENS9_8equal_toIvEEiEE10hipError_tPvRmT2_T3_T4_T5_mT6_T7_P12ihipStream_tbENKUlT_T0_E_clISt17integral_constantIbLb0EES14_IbLb1EEEEDaS10_S11_EUlS10_E_NS1_11comp_targetILNS1_3genE0ELNS1_11target_archE4294967295ELNS1_3gpuE0ELNS1_3repE0EEENS1_30default_config_static_selectorELNS0_4arch9wavefront6targetE0EEEvT1_.num_vgpr, 0
	.set _ZN7rocprim17ROCPRIM_400000_NS6detail17trampoline_kernelINS0_14default_configENS1_27scan_by_key_config_selectorImiEEZZNS1_16scan_by_key_implILNS1_25lookback_scan_determinismE0ELb0ES3_N6thrust23THRUST_200600_302600_NS18transform_iteratorI9row_indexNS9_17counting_iteratorImNS9_11use_defaultESD_SD_EESD_SD_EENS9_6detail15normal_iteratorINS9_10device_ptrIiEEEESK_iNS9_4plusIvEENS9_8equal_toIvEEiEE10hipError_tPvRmT2_T3_T4_T5_mT6_T7_P12ihipStream_tbENKUlT_T0_E_clISt17integral_constantIbLb0EES14_IbLb1EEEEDaS10_S11_EUlS10_E_NS1_11comp_targetILNS1_3genE0ELNS1_11target_archE4294967295ELNS1_3gpuE0ELNS1_3repE0EEENS1_30default_config_static_selectorELNS0_4arch9wavefront6targetE0EEEvT1_.num_agpr, 0
	.set _ZN7rocprim17ROCPRIM_400000_NS6detail17trampoline_kernelINS0_14default_configENS1_27scan_by_key_config_selectorImiEEZZNS1_16scan_by_key_implILNS1_25lookback_scan_determinismE0ELb0ES3_N6thrust23THRUST_200600_302600_NS18transform_iteratorI9row_indexNS9_17counting_iteratorImNS9_11use_defaultESD_SD_EESD_SD_EENS9_6detail15normal_iteratorINS9_10device_ptrIiEEEESK_iNS9_4plusIvEENS9_8equal_toIvEEiEE10hipError_tPvRmT2_T3_T4_T5_mT6_T7_P12ihipStream_tbENKUlT_T0_E_clISt17integral_constantIbLb0EES14_IbLb1EEEEDaS10_S11_EUlS10_E_NS1_11comp_targetILNS1_3genE0ELNS1_11target_archE4294967295ELNS1_3gpuE0ELNS1_3repE0EEENS1_30default_config_static_selectorELNS0_4arch9wavefront6targetE0EEEvT1_.numbered_sgpr, 0
	.set _ZN7rocprim17ROCPRIM_400000_NS6detail17trampoline_kernelINS0_14default_configENS1_27scan_by_key_config_selectorImiEEZZNS1_16scan_by_key_implILNS1_25lookback_scan_determinismE0ELb0ES3_N6thrust23THRUST_200600_302600_NS18transform_iteratorI9row_indexNS9_17counting_iteratorImNS9_11use_defaultESD_SD_EESD_SD_EENS9_6detail15normal_iteratorINS9_10device_ptrIiEEEESK_iNS9_4plusIvEENS9_8equal_toIvEEiEE10hipError_tPvRmT2_T3_T4_T5_mT6_T7_P12ihipStream_tbENKUlT_T0_E_clISt17integral_constantIbLb0EES14_IbLb1EEEEDaS10_S11_EUlS10_E_NS1_11comp_targetILNS1_3genE0ELNS1_11target_archE4294967295ELNS1_3gpuE0ELNS1_3repE0EEENS1_30default_config_static_selectorELNS0_4arch9wavefront6targetE0EEEvT1_.num_named_barrier, 0
	.set _ZN7rocprim17ROCPRIM_400000_NS6detail17trampoline_kernelINS0_14default_configENS1_27scan_by_key_config_selectorImiEEZZNS1_16scan_by_key_implILNS1_25lookback_scan_determinismE0ELb0ES3_N6thrust23THRUST_200600_302600_NS18transform_iteratorI9row_indexNS9_17counting_iteratorImNS9_11use_defaultESD_SD_EESD_SD_EENS9_6detail15normal_iteratorINS9_10device_ptrIiEEEESK_iNS9_4plusIvEENS9_8equal_toIvEEiEE10hipError_tPvRmT2_T3_T4_T5_mT6_T7_P12ihipStream_tbENKUlT_T0_E_clISt17integral_constantIbLb0EES14_IbLb1EEEEDaS10_S11_EUlS10_E_NS1_11comp_targetILNS1_3genE0ELNS1_11target_archE4294967295ELNS1_3gpuE0ELNS1_3repE0EEENS1_30default_config_static_selectorELNS0_4arch9wavefront6targetE0EEEvT1_.private_seg_size, 0
	.set _ZN7rocprim17ROCPRIM_400000_NS6detail17trampoline_kernelINS0_14default_configENS1_27scan_by_key_config_selectorImiEEZZNS1_16scan_by_key_implILNS1_25lookback_scan_determinismE0ELb0ES3_N6thrust23THRUST_200600_302600_NS18transform_iteratorI9row_indexNS9_17counting_iteratorImNS9_11use_defaultESD_SD_EESD_SD_EENS9_6detail15normal_iteratorINS9_10device_ptrIiEEEESK_iNS9_4plusIvEENS9_8equal_toIvEEiEE10hipError_tPvRmT2_T3_T4_T5_mT6_T7_P12ihipStream_tbENKUlT_T0_E_clISt17integral_constantIbLb0EES14_IbLb1EEEEDaS10_S11_EUlS10_E_NS1_11comp_targetILNS1_3genE0ELNS1_11target_archE4294967295ELNS1_3gpuE0ELNS1_3repE0EEENS1_30default_config_static_selectorELNS0_4arch9wavefront6targetE0EEEvT1_.uses_vcc, 0
	.set _ZN7rocprim17ROCPRIM_400000_NS6detail17trampoline_kernelINS0_14default_configENS1_27scan_by_key_config_selectorImiEEZZNS1_16scan_by_key_implILNS1_25lookback_scan_determinismE0ELb0ES3_N6thrust23THRUST_200600_302600_NS18transform_iteratorI9row_indexNS9_17counting_iteratorImNS9_11use_defaultESD_SD_EESD_SD_EENS9_6detail15normal_iteratorINS9_10device_ptrIiEEEESK_iNS9_4plusIvEENS9_8equal_toIvEEiEE10hipError_tPvRmT2_T3_T4_T5_mT6_T7_P12ihipStream_tbENKUlT_T0_E_clISt17integral_constantIbLb0EES14_IbLb1EEEEDaS10_S11_EUlS10_E_NS1_11comp_targetILNS1_3genE0ELNS1_11target_archE4294967295ELNS1_3gpuE0ELNS1_3repE0EEENS1_30default_config_static_selectorELNS0_4arch9wavefront6targetE0EEEvT1_.uses_flat_scratch, 0
	.set _ZN7rocprim17ROCPRIM_400000_NS6detail17trampoline_kernelINS0_14default_configENS1_27scan_by_key_config_selectorImiEEZZNS1_16scan_by_key_implILNS1_25lookback_scan_determinismE0ELb0ES3_N6thrust23THRUST_200600_302600_NS18transform_iteratorI9row_indexNS9_17counting_iteratorImNS9_11use_defaultESD_SD_EESD_SD_EENS9_6detail15normal_iteratorINS9_10device_ptrIiEEEESK_iNS9_4plusIvEENS9_8equal_toIvEEiEE10hipError_tPvRmT2_T3_T4_T5_mT6_T7_P12ihipStream_tbENKUlT_T0_E_clISt17integral_constantIbLb0EES14_IbLb1EEEEDaS10_S11_EUlS10_E_NS1_11comp_targetILNS1_3genE0ELNS1_11target_archE4294967295ELNS1_3gpuE0ELNS1_3repE0EEENS1_30default_config_static_selectorELNS0_4arch9wavefront6targetE0EEEvT1_.has_dyn_sized_stack, 0
	.set _ZN7rocprim17ROCPRIM_400000_NS6detail17trampoline_kernelINS0_14default_configENS1_27scan_by_key_config_selectorImiEEZZNS1_16scan_by_key_implILNS1_25lookback_scan_determinismE0ELb0ES3_N6thrust23THRUST_200600_302600_NS18transform_iteratorI9row_indexNS9_17counting_iteratorImNS9_11use_defaultESD_SD_EESD_SD_EENS9_6detail15normal_iteratorINS9_10device_ptrIiEEEESK_iNS9_4plusIvEENS9_8equal_toIvEEiEE10hipError_tPvRmT2_T3_T4_T5_mT6_T7_P12ihipStream_tbENKUlT_T0_E_clISt17integral_constantIbLb0EES14_IbLb1EEEEDaS10_S11_EUlS10_E_NS1_11comp_targetILNS1_3genE0ELNS1_11target_archE4294967295ELNS1_3gpuE0ELNS1_3repE0EEENS1_30default_config_static_selectorELNS0_4arch9wavefront6targetE0EEEvT1_.has_recursion, 0
	.set _ZN7rocprim17ROCPRIM_400000_NS6detail17trampoline_kernelINS0_14default_configENS1_27scan_by_key_config_selectorImiEEZZNS1_16scan_by_key_implILNS1_25lookback_scan_determinismE0ELb0ES3_N6thrust23THRUST_200600_302600_NS18transform_iteratorI9row_indexNS9_17counting_iteratorImNS9_11use_defaultESD_SD_EESD_SD_EENS9_6detail15normal_iteratorINS9_10device_ptrIiEEEESK_iNS9_4plusIvEENS9_8equal_toIvEEiEE10hipError_tPvRmT2_T3_T4_T5_mT6_T7_P12ihipStream_tbENKUlT_T0_E_clISt17integral_constantIbLb0EES14_IbLb1EEEEDaS10_S11_EUlS10_E_NS1_11comp_targetILNS1_3genE0ELNS1_11target_archE4294967295ELNS1_3gpuE0ELNS1_3repE0EEENS1_30default_config_static_selectorELNS0_4arch9wavefront6targetE0EEEvT1_.has_indirect_call, 0
	.section	.AMDGPU.csdata,"",@progbits
; Kernel info:
; codeLenInByte = 0
; TotalNumSgprs: 0
; NumVgprs: 0
; ScratchSize: 0
; MemoryBound: 0
; FloatMode: 240
; IeeeMode: 1
; LDSByteSize: 0 bytes/workgroup (compile time only)
; SGPRBlocks: 0
; VGPRBlocks: 0
; NumSGPRsForWavesPerEU: 1
; NumVGPRsForWavesPerEU: 1
; Occupancy: 16
; WaveLimiterHint : 0
; COMPUTE_PGM_RSRC2:SCRATCH_EN: 0
; COMPUTE_PGM_RSRC2:USER_SGPR: 6
; COMPUTE_PGM_RSRC2:TRAP_HANDLER: 0
; COMPUTE_PGM_RSRC2:TGID_X_EN: 1
; COMPUTE_PGM_RSRC2:TGID_Y_EN: 0
; COMPUTE_PGM_RSRC2:TGID_Z_EN: 0
; COMPUTE_PGM_RSRC2:TIDIG_COMP_CNT: 0
	.section	.text._ZN7rocprim17ROCPRIM_400000_NS6detail17trampoline_kernelINS0_14default_configENS1_27scan_by_key_config_selectorImiEEZZNS1_16scan_by_key_implILNS1_25lookback_scan_determinismE0ELb0ES3_N6thrust23THRUST_200600_302600_NS18transform_iteratorI9row_indexNS9_17counting_iteratorImNS9_11use_defaultESD_SD_EESD_SD_EENS9_6detail15normal_iteratorINS9_10device_ptrIiEEEESK_iNS9_4plusIvEENS9_8equal_toIvEEiEE10hipError_tPvRmT2_T3_T4_T5_mT6_T7_P12ihipStream_tbENKUlT_T0_E_clISt17integral_constantIbLb0EES14_IbLb1EEEEDaS10_S11_EUlS10_E_NS1_11comp_targetILNS1_3genE10ELNS1_11target_archE1201ELNS1_3gpuE5ELNS1_3repE0EEENS1_30default_config_static_selectorELNS0_4arch9wavefront6targetE0EEEvT1_,"axG",@progbits,_ZN7rocprim17ROCPRIM_400000_NS6detail17trampoline_kernelINS0_14default_configENS1_27scan_by_key_config_selectorImiEEZZNS1_16scan_by_key_implILNS1_25lookback_scan_determinismE0ELb0ES3_N6thrust23THRUST_200600_302600_NS18transform_iteratorI9row_indexNS9_17counting_iteratorImNS9_11use_defaultESD_SD_EESD_SD_EENS9_6detail15normal_iteratorINS9_10device_ptrIiEEEESK_iNS9_4plusIvEENS9_8equal_toIvEEiEE10hipError_tPvRmT2_T3_T4_T5_mT6_T7_P12ihipStream_tbENKUlT_T0_E_clISt17integral_constantIbLb0EES14_IbLb1EEEEDaS10_S11_EUlS10_E_NS1_11comp_targetILNS1_3genE10ELNS1_11target_archE1201ELNS1_3gpuE5ELNS1_3repE0EEENS1_30default_config_static_selectorELNS0_4arch9wavefront6targetE0EEEvT1_,comdat
	.protected	_ZN7rocprim17ROCPRIM_400000_NS6detail17trampoline_kernelINS0_14default_configENS1_27scan_by_key_config_selectorImiEEZZNS1_16scan_by_key_implILNS1_25lookback_scan_determinismE0ELb0ES3_N6thrust23THRUST_200600_302600_NS18transform_iteratorI9row_indexNS9_17counting_iteratorImNS9_11use_defaultESD_SD_EESD_SD_EENS9_6detail15normal_iteratorINS9_10device_ptrIiEEEESK_iNS9_4plusIvEENS9_8equal_toIvEEiEE10hipError_tPvRmT2_T3_T4_T5_mT6_T7_P12ihipStream_tbENKUlT_T0_E_clISt17integral_constantIbLb0EES14_IbLb1EEEEDaS10_S11_EUlS10_E_NS1_11comp_targetILNS1_3genE10ELNS1_11target_archE1201ELNS1_3gpuE5ELNS1_3repE0EEENS1_30default_config_static_selectorELNS0_4arch9wavefront6targetE0EEEvT1_ ; -- Begin function _ZN7rocprim17ROCPRIM_400000_NS6detail17trampoline_kernelINS0_14default_configENS1_27scan_by_key_config_selectorImiEEZZNS1_16scan_by_key_implILNS1_25lookback_scan_determinismE0ELb0ES3_N6thrust23THRUST_200600_302600_NS18transform_iteratorI9row_indexNS9_17counting_iteratorImNS9_11use_defaultESD_SD_EESD_SD_EENS9_6detail15normal_iteratorINS9_10device_ptrIiEEEESK_iNS9_4plusIvEENS9_8equal_toIvEEiEE10hipError_tPvRmT2_T3_T4_T5_mT6_T7_P12ihipStream_tbENKUlT_T0_E_clISt17integral_constantIbLb0EES14_IbLb1EEEEDaS10_S11_EUlS10_E_NS1_11comp_targetILNS1_3genE10ELNS1_11target_archE1201ELNS1_3gpuE5ELNS1_3repE0EEENS1_30default_config_static_selectorELNS0_4arch9wavefront6targetE0EEEvT1_
	.globl	_ZN7rocprim17ROCPRIM_400000_NS6detail17trampoline_kernelINS0_14default_configENS1_27scan_by_key_config_selectorImiEEZZNS1_16scan_by_key_implILNS1_25lookback_scan_determinismE0ELb0ES3_N6thrust23THRUST_200600_302600_NS18transform_iteratorI9row_indexNS9_17counting_iteratorImNS9_11use_defaultESD_SD_EESD_SD_EENS9_6detail15normal_iteratorINS9_10device_ptrIiEEEESK_iNS9_4plusIvEENS9_8equal_toIvEEiEE10hipError_tPvRmT2_T3_T4_T5_mT6_T7_P12ihipStream_tbENKUlT_T0_E_clISt17integral_constantIbLb0EES14_IbLb1EEEEDaS10_S11_EUlS10_E_NS1_11comp_targetILNS1_3genE10ELNS1_11target_archE1201ELNS1_3gpuE5ELNS1_3repE0EEENS1_30default_config_static_selectorELNS0_4arch9wavefront6targetE0EEEvT1_
	.p2align	8
	.type	_ZN7rocprim17ROCPRIM_400000_NS6detail17trampoline_kernelINS0_14default_configENS1_27scan_by_key_config_selectorImiEEZZNS1_16scan_by_key_implILNS1_25lookback_scan_determinismE0ELb0ES3_N6thrust23THRUST_200600_302600_NS18transform_iteratorI9row_indexNS9_17counting_iteratorImNS9_11use_defaultESD_SD_EESD_SD_EENS9_6detail15normal_iteratorINS9_10device_ptrIiEEEESK_iNS9_4plusIvEENS9_8equal_toIvEEiEE10hipError_tPvRmT2_T3_T4_T5_mT6_T7_P12ihipStream_tbENKUlT_T0_E_clISt17integral_constantIbLb0EES14_IbLb1EEEEDaS10_S11_EUlS10_E_NS1_11comp_targetILNS1_3genE10ELNS1_11target_archE1201ELNS1_3gpuE5ELNS1_3repE0EEENS1_30default_config_static_selectorELNS0_4arch9wavefront6targetE0EEEvT1_,@function
_ZN7rocprim17ROCPRIM_400000_NS6detail17trampoline_kernelINS0_14default_configENS1_27scan_by_key_config_selectorImiEEZZNS1_16scan_by_key_implILNS1_25lookback_scan_determinismE0ELb0ES3_N6thrust23THRUST_200600_302600_NS18transform_iteratorI9row_indexNS9_17counting_iteratorImNS9_11use_defaultESD_SD_EESD_SD_EENS9_6detail15normal_iteratorINS9_10device_ptrIiEEEESK_iNS9_4plusIvEENS9_8equal_toIvEEiEE10hipError_tPvRmT2_T3_T4_T5_mT6_T7_P12ihipStream_tbENKUlT_T0_E_clISt17integral_constantIbLb0EES14_IbLb1EEEEDaS10_S11_EUlS10_E_NS1_11comp_targetILNS1_3genE10ELNS1_11target_archE1201ELNS1_3gpuE5ELNS1_3repE0EEENS1_30default_config_static_selectorELNS0_4arch9wavefront6targetE0EEEvT1_: ; @_ZN7rocprim17ROCPRIM_400000_NS6detail17trampoline_kernelINS0_14default_configENS1_27scan_by_key_config_selectorImiEEZZNS1_16scan_by_key_implILNS1_25lookback_scan_determinismE0ELb0ES3_N6thrust23THRUST_200600_302600_NS18transform_iteratorI9row_indexNS9_17counting_iteratorImNS9_11use_defaultESD_SD_EESD_SD_EENS9_6detail15normal_iteratorINS9_10device_ptrIiEEEESK_iNS9_4plusIvEENS9_8equal_toIvEEiEE10hipError_tPvRmT2_T3_T4_T5_mT6_T7_P12ihipStream_tbENKUlT_T0_E_clISt17integral_constantIbLb0EES14_IbLb1EEEEDaS10_S11_EUlS10_E_NS1_11comp_targetILNS1_3genE10ELNS1_11target_archE1201ELNS1_3gpuE5ELNS1_3repE0EEENS1_30default_config_static_selectorELNS0_4arch9wavefront6targetE0EEEvT1_
; %bb.0:
	.section	.rodata,"a",@progbits
	.p2align	6, 0x0
	.amdhsa_kernel _ZN7rocprim17ROCPRIM_400000_NS6detail17trampoline_kernelINS0_14default_configENS1_27scan_by_key_config_selectorImiEEZZNS1_16scan_by_key_implILNS1_25lookback_scan_determinismE0ELb0ES3_N6thrust23THRUST_200600_302600_NS18transform_iteratorI9row_indexNS9_17counting_iteratorImNS9_11use_defaultESD_SD_EESD_SD_EENS9_6detail15normal_iteratorINS9_10device_ptrIiEEEESK_iNS9_4plusIvEENS9_8equal_toIvEEiEE10hipError_tPvRmT2_T3_T4_T5_mT6_T7_P12ihipStream_tbENKUlT_T0_E_clISt17integral_constantIbLb0EES14_IbLb1EEEEDaS10_S11_EUlS10_E_NS1_11comp_targetILNS1_3genE10ELNS1_11target_archE1201ELNS1_3gpuE5ELNS1_3repE0EEENS1_30default_config_static_selectorELNS0_4arch9wavefront6targetE0EEEvT1_
		.amdhsa_group_segment_fixed_size 0
		.amdhsa_private_segment_fixed_size 0
		.amdhsa_kernarg_size 120
		.amdhsa_user_sgpr_count 6
		.amdhsa_user_sgpr_private_segment_buffer 1
		.amdhsa_user_sgpr_dispatch_ptr 0
		.amdhsa_user_sgpr_queue_ptr 0
		.amdhsa_user_sgpr_kernarg_segment_ptr 1
		.amdhsa_user_sgpr_dispatch_id 0
		.amdhsa_user_sgpr_flat_scratch_init 0
		.amdhsa_user_sgpr_private_segment_size 0
		.amdhsa_wavefront_size32 1
		.amdhsa_uses_dynamic_stack 0
		.amdhsa_system_sgpr_private_segment_wavefront_offset 0
		.amdhsa_system_sgpr_workgroup_id_x 1
		.amdhsa_system_sgpr_workgroup_id_y 0
		.amdhsa_system_sgpr_workgroup_id_z 0
		.amdhsa_system_sgpr_workgroup_info 0
		.amdhsa_system_vgpr_workitem_id 0
		.amdhsa_next_free_vgpr 1
		.amdhsa_next_free_sgpr 1
		.amdhsa_reserve_vcc 0
		.amdhsa_reserve_flat_scratch 0
		.amdhsa_float_round_mode_32 0
		.amdhsa_float_round_mode_16_64 0
		.amdhsa_float_denorm_mode_32 3
		.amdhsa_float_denorm_mode_16_64 3
		.amdhsa_dx10_clamp 1
		.amdhsa_ieee_mode 1
		.amdhsa_fp16_overflow 0
		.amdhsa_workgroup_processor_mode 1
		.amdhsa_memory_ordered 1
		.amdhsa_forward_progress 1
		.amdhsa_shared_vgpr_count 0
		.amdhsa_exception_fp_ieee_invalid_op 0
		.amdhsa_exception_fp_denorm_src 0
		.amdhsa_exception_fp_ieee_div_zero 0
		.amdhsa_exception_fp_ieee_overflow 0
		.amdhsa_exception_fp_ieee_underflow 0
		.amdhsa_exception_fp_ieee_inexact 0
		.amdhsa_exception_int_div_zero 0
	.end_amdhsa_kernel
	.section	.text._ZN7rocprim17ROCPRIM_400000_NS6detail17trampoline_kernelINS0_14default_configENS1_27scan_by_key_config_selectorImiEEZZNS1_16scan_by_key_implILNS1_25lookback_scan_determinismE0ELb0ES3_N6thrust23THRUST_200600_302600_NS18transform_iteratorI9row_indexNS9_17counting_iteratorImNS9_11use_defaultESD_SD_EESD_SD_EENS9_6detail15normal_iteratorINS9_10device_ptrIiEEEESK_iNS9_4plusIvEENS9_8equal_toIvEEiEE10hipError_tPvRmT2_T3_T4_T5_mT6_T7_P12ihipStream_tbENKUlT_T0_E_clISt17integral_constantIbLb0EES14_IbLb1EEEEDaS10_S11_EUlS10_E_NS1_11comp_targetILNS1_3genE10ELNS1_11target_archE1201ELNS1_3gpuE5ELNS1_3repE0EEENS1_30default_config_static_selectorELNS0_4arch9wavefront6targetE0EEEvT1_,"axG",@progbits,_ZN7rocprim17ROCPRIM_400000_NS6detail17trampoline_kernelINS0_14default_configENS1_27scan_by_key_config_selectorImiEEZZNS1_16scan_by_key_implILNS1_25lookback_scan_determinismE0ELb0ES3_N6thrust23THRUST_200600_302600_NS18transform_iteratorI9row_indexNS9_17counting_iteratorImNS9_11use_defaultESD_SD_EESD_SD_EENS9_6detail15normal_iteratorINS9_10device_ptrIiEEEESK_iNS9_4plusIvEENS9_8equal_toIvEEiEE10hipError_tPvRmT2_T3_T4_T5_mT6_T7_P12ihipStream_tbENKUlT_T0_E_clISt17integral_constantIbLb0EES14_IbLb1EEEEDaS10_S11_EUlS10_E_NS1_11comp_targetILNS1_3genE10ELNS1_11target_archE1201ELNS1_3gpuE5ELNS1_3repE0EEENS1_30default_config_static_selectorELNS0_4arch9wavefront6targetE0EEEvT1_,comdat
.Lfunc_end37:
	.size	_ZN7rocprim17ROCPRIM_400000_NS6detail17trampoline_kernelINS0_14default_configENS1_27scan_by_key_config_selectorImiEEZZNS1_16scan_by_key_implILNS1_25lookback_scan_determinismE0ELb0ES3_N6thrust23THRUST_200600_302600_NS18transform_iteratorI9row_indexNS9_17counting_iteratorImNS9_11use_defaultESD_SD_EESD_SD_EENS9_6detail15normal_iteratorINS9_10device_ptrIiEEEESK_iNS9_4plusIvEENS9_8equal_toIvEEiEE10hipError_tPvRmT2_T3_T4_T5_mT6_T7_P12ihipStream_tbENKUlT_T0_E_clISt17integral_constantIbLb0EES14_IbLb1EEEEDaS10_S11_EUlS10_E_NS1_11comp_targetILNS1_3genE10ELNS1_11target_archE1201ELNS1_3gpuE5ELNS1_3repE0EEENS1_30default_config_static_selectorELNS0_4arch9wavefront6targetE0EEEvT1_, .Lfunc_end37-_ZN7rocprim17ROCPRIM_400000_NS6detail17trampoline_kernelINS0_14default_configENS1_27scan_by_key_config_selectorImiEEZZNS1_16scan_by_key_implILNS1_25lookback_scan_determinismE0ELb0ES3_N6thrust23THRUST_200600_302600_NS18transform_iteratorI9row_indexNS9_17counting_iteratorImNS9_11use_defaultESD_SD_EESD_SD_EENS9_6detail15normal_iteratorINS9_10device_ptrIiEEEESK_iNS9_4plusIvEENS9_8equal_toIvEEiEE10hipError_tPvRmT2_T3_T4_T5_mT6_T7_P12ihipStream_tbENKUlT_T0_E_clISt17integral_constantIbLb0EES14_IbLb1EEEEDaS10_S11_EUlS10_E_NS1_11comp_targetILNS1_3genE10ELNS1_11target_archE1201ELNS1_3gpuE5ELNS1_3repE0EEENS1_30default_config_static_selectorELNS0_4arch9wavefront6targetE0EEEvT1_
                                        ; -- End function
	.set _ZN7rocprim17ROCPRIM_400000_NS6detail17trampoline_kernelINS0_14default_configENS1_27scan_by_key_config_selectorImiEEZZNS1_16scan_by_key_implILNS1_25lookback_scan_determinismE0ELb0ES3_N6thrust23THRUST_200600_302600_NS18transform_iteratorI9row_indexNS9_17counting_iteratorImNS9_11use_defaultESD_SD_EESD_SD_EENS9_6detail15normal_iteratorINS9_10device_ptrIiEEEESK_iNS9_4plusIvEENS9_8equal_toIvEEiEE10hipError_tPvRmT2_T3_T4_T5_mT6_T7_P12ihipStream_tbENKUlT_T0_E_clISt17integral_constantIbLb0EES14_IbLb1EEEEDaS10_S11_EUlS10_E_NS1_11comp_targetILNS1_3genE10ELNS1_11target_archE1201ELNS1_3gpuE5ELNS1_3repE0EEENS1_30default_config_static_selectorELNS0_4arch9wavefront6targetE0EEEvT1_.num_vgpr, 0
	.set _ZN7rocprim17ROCPRIM_400000_NS6detail17trampoline_kernelINS0_14default_configENS1_27scan_by_key_config_selectorImiEEZZNS1_16scan_by_key_implILNS1_25lookback_scan_determinismE0ELb0ES3_N6thrust23THRUST_200600_302600_NS18transform_iteratorI9row_indexNS9_17counting_iteratorImNS9_11use_defaultESD_SD_EESD_SD_EENS9_6detail15normal_iteratorINS9_10device_ptrIiEEEESK_iNS9_4plusIvEENS9_8equal_toIvEEiEE10hipError_tPvRmT2_T3_T4_T5_mT6_T7_P12ihipStream_tbENKUlT_T0_E_clISt17integral_constantIbLb0EES14_IbLb1EEEEDaS10_S11_EUlS10_E_NS1_11comp_targetILNS1_3genE10ELNS1_11target_archE1201ELNS1_3gpuE5ELNS1_3repE0EEENS1_30default_config_static_selectorELNS0_4arch9wavefront6targetE0EEEvT1_.num_agpr, 0
	.set _ZN7rocprim17ROCPRIM_400000_NS6detail17trampoline_kernelINS0_14default_configENS1_27scan_by_key_config_selectorImiEEZZNS1_16scan_by_key_implILNS1_25lookback_scan_determinismE0ELb0ES3_N6thrust23THRUST_200600_302600_NS18transform_iteratorI9row_indexNS9_17counting_iteratorImNS9_11use_defaultESD_SD_EESD_SD_EENS9_6detail15normal_iteratorINS9_10device_ptrIiEEEESK_iNS9_4plusIvEENS9_8equal_toIvEEiEE10hipError_tPvRmT2_T3_T4_T5_mT6_T7_P12ihipStream_tbENKUlT_T0_E_clISt17integral_constantIbLb0EES14_IbLb1EEEEDaS10_S11_EUlS10_E_NS1_11comp_targetILNS1_3genE10ELNS1_11target_archE1201ELNS1_3gpuE5ELNS1_3repE0EEENS1_30default_config_static_selectorELNS0_4arch9wavefront6targetE0EEEvT1_.numbered_sgpr, 0
	.set _ZN7rocprim17ROCPRIM_400000_NS6detail17trampoline_kernelINS0_14default_configENS1_27scan_by_key_config_selectorImiEEZZNS1_16scan_by_key_implILNS1_25lookback_scan_determinismE0ELb0ES3_N6thrust23THRUST_200600_302600_NS18transform_iteratorI9row_indexNS9_17counting_iteratorImNS9_11use_defaultESD_SD_EESD_SD_EENS9_6detail15normal_iteratorINS9_10device_ptrIiEEEESK_iNS9_4plusIvEENS9_8equal_toIvEEiEE10hipError_tPvRmT2_T3_T4_T5_mT6_T7_P12ihipStream_tbENKUlT_T0_E_clISt17integral_constantIbLb0EES14_IbLb1EEEEDaS10_S11_EUlS10_E_NS1_11comp_targetILNS1_3genE10ELNS1_11target_archE1201ELNS1_3gpuE5ELNS1_3repE0EEENS1_30default_config_static_selectorELNS0_4arch9wavefront6targetE0EEEvT1_.num_named_barrier, 0
	.set _ZN7rocprim17ROCPRIM_400000_NS6detail17trampoline_kernelINS0_14default_configENS1_27scan_by_key_config_selectorImiEEZZNS1_16scan_by_key_implILNS1_25lookback_scan_determinismE0ELb0ES3_N6thrust23THRUST_200600_302600_NS18transform_iteratorI9row_indexNS9_17counting_iteratorImNS9_11use_defaultESD_SD_EESD_SD_EENS9_6detail15normal_iteratorINS9_10device_ptrIiEEEESK_iNS9_4plusIvEENS9_8equal_toIvEEiEE10hipError_tPvRmT2_T3_T4_T5_mT6_T7_P12ihipStream_tbENKUlT_T0_E_clISt17integral_constantIbLb0EES14_IbLb1EEEEDaS10_S11_EUlS10_E_NS1_11comp_targetILNS1_3genE10ELNS1_11target_archE1201ELNS1_3gpuE5ELNS1_3repE0EEENS1_30default_config_static_selectorELNS0_4arch9wavefront6targetE0EEEvT1_.private_seg_size, 0
	.set _ZN7rocprim17ROCPRIM_400000_NS6detail17trampoline_kernelINS0_14default_configENS1_27scan_by_key_config_selectorImiEEZZNS1_16scan_by_key_implILNS1_25lookback_scan_determinismE0ELb0ES3_N6thrust23THRUST_200600_302600_NS18transform_iteratorI9row_indexNS9_17counting_iteratorImNS9_11use_defaultESD_SD_EESD_SD_EENS9_6detail15normal_iteratorINS9_10device_ptrIiEEEESK_iNS9_4plusIvEENS9_8equal_toIvEEiEE10hipError_tPvRmT2_T3_T4_T5_mT6_T7_P12ihipStream_tbENKUlT_T0_E_clISt17integral_constantIbLb0EES14_IbLb1EEEEDaS10_S11_EUlS10_E_NS1_11comp_targetILNS1_3genE10ELNS1_11target_archE1201ELNS1_3gpuE5ELNS1_3repE0EEENS1_30default_config_static_selectorELNS0_4arch9wavefront6targetE0EEEvT1_.uses_vcc, 0
	.set _ZN7rocprim17ROCPRIM_400000_NS6detail17trampoline_kernelINS0_14default_configENS1_27scan_by_key_config_selectorImiEEZZNS1_16scan_by_key_implILNS1_25lookback_scan_determinismE0ELb0ES3_N6thrust23THRUST_200600_302600_NS18transform_iteratorI9row_indexNS9_17counting_iteratorImNS9_11use_defaultESD_SD_EESD_SD_EENS9_6detail15normal_iteratorINS9_10device_ptrIiEEEESK_iNS9_4plusIvEENS9_8equal_toIvEEiEE10hipError_tPvRmT2_T3_T4_T5_mT6_T7_P12ihipStream_tbENKUlT_T0_E_clISt17integral_constantIbLb0EES14_IbLb1EEEEDaS10_S11_EUlS10_E_NS1_11comp_targetILNS1_3genE10ELNS1_11target_archE1201ELNS1_3gpuE5ELNS1_3repE0EEENS1_30default_config_static_selectorELNS0_4arch9wavefront6targetE0EEEvT1_.uses_flat_scratch, 0
	.set _ZN7rocprim17ROCPRIM_400000_NS6detail17trampoline_kernelINS0_14default_configENS1_27scan_by_key_config_selectorImiEEZZNS1_16scan_by_key_implILNS1_25lookback_scan_determinismE0ELb0ES3_N6thrust23THRUST_200600_302600_NS18transform_iteratorI9row_indexNS9_17counting_iteratorImNS9_11use_defaultESD_SD_EESD_SD_EENS9_6detail15normal_iteratorINS9_10device_ptrIiEEEESK_iNS9_4plusIvEENS9_8equal_toIvEEiEE10hipError_tPvRmT2_T3_T4_T5_mT6_T7_P12ihipStream_tbENKUlT_T0_E_clISt17integral_constantIbLb0EES14_IbLb1EEEEDaS10_S11_EUlS10_E_NS1_11comp_targetILNS1_3genE10ELNS1_11target_archE1201ELNS1_3gpuE5ELNS1_3repE0EEENS1_30default_config_static_selectorELNS0_4arch9wavefront6targetE0EEEvT1_.has_dyn_sized_stack, 0
	.set _ZN7rocprim17ROCPRIM_400000_NS6detail17trampoline_kernelINS0_14default_configENS1_27scan_by_key_config_selectorImiEEZZNS1_16scan_by_key_implILNS1_25lookback_scan_determinismE0ELb0ES3_N6thrust23THRUST_200600_302600_NS18transform_iteratorI9row_indexNS9_17counting_iteratorImNS9_11use_defaultESD_SD_EESD_SD_EENS9_6detail15normal_iteratorINS9_10device_ptrIiEEEESK_iNS9_4plusIvEENS9_8equal_toIvEEiEE10hipError_tPvRmT2_T3_T4_T5_mT6_T7_P12ihipStream_tbENKUlT_T0_E_clISt17integral_constantIbLb0EES14_IbLb1EEEEDaS10_S11_EUlS10_E_NS1_11comp_targetILNS1_3genE10ELNS1_11target_archE1201ELNS1_3gpuE5ELNS1_3repE0EEENS1_30default_config_static_selectorELNS0_4arch9wavefront6targetE0EEEvT1_.has_recursion, 0
	.set _ZN7rocprim17ROCPRIM_400000_NS6detail17trampoline_kernelINS0_14default_configENS1_27scan_by_key_config_selectorImiEEZZNS1_16scan_by_key_implILNS1_25lookback_scan_determinismE0ELb0ES3_N6thrust23THRUST_200600_302600_NS18transform_iteratorI9row_indexNS9_17counting_iteratorImNS9_11use_defaultESD_SD_EESD_SD_EENS9_6detail15normal_iteratorINS9_10device_ptrIiEEEESK_iNS9_4plusIvEENS9_8equal_toIvEEiEE10hipError_tPvRmT2_T3_T4_T5_mT6_T7_P12ihipStream_tbENKUlT_T0_E_clISt17integral_constantIbLb0EES14_IbLb1EEEEDaS10_S11_EUlS10_E_NS1_11comp_targetILNS1_3genE10ELNS1_11target_archE1201ELNS1_3gpuE5ELNS1_3repE0EEENS1_30default_config_static_selectorELNS0_4arch9wavefront6targetE0EEEvT1_.has_indirect_call, 0
	.section	.AMDGPU.csdata,"",@progbits
; Kernel info:
; codeLenInByte = 0
; TotalNumSgprs: 0
; NumVgprs: 0
; ScratchSize: 0
; MemoryBound: 0
; FloatMode: 240
; IeeeMode: 1
; LDSByteSize: 0 bytes/workgroup (compile time only)
; SGPRBlocks: 0
; VGPRBlocks: 0
; NumSGPRsForWavesPerEU: 1
; NumVGPRsForWavesPerEU: 1
; Occupancy: 16
; WaveLimiterHint : 0
; COMPUTE_PGM_RSRC2:SCRATCH_EN: 0
; COMPUTE_PGM_RSRC2:USER_SGPR: 6
; COMPUTE_PGM_RSRC2:TRAP_HANDLER: 0
; COMPUTE_PGM_RSRC2:TGID_X_EN: 1
; COMPUTE_PGM_RSRC2:TGID_Y_EN: 0
; COMPUTE_PGM_RSRC2:TGID_Z_EN: 0
; COMPUTE_PGM_RSRC2:TIDIG_COMP_CNT: 0
	.section	.text._ZN7rocprim17ROCPRIM_400000_NS6detail17trampoline_kernelINS0_14default_configENS1_27scan_by_key_config_selectorImiEEZZNS1_16scan_by_key_implILNS1_25lookback_scan_determinismE0ELb0ES3_N6thrust23THRUST_200600_302600_NS18transform_iteratorI9row_indexNS9_17counting_iteratorImNS9_11use_defaultESD_SD_EESD_SD_EENS9_6detail15normal_iteratorINS9_10device_ptrIiEEEESK_iNS9_4plusIvEENS9_8equal_toIvEEiEE10hipError_tPvRmT2_T3_T4_T5_mT6_T7_P12ihipStream_tbENKUlT_T0_E_clISt17integral_constantIbLb0EES14_IbLb1EEEEDaS10_S11_EUlS10_E_NS1_11comp_targetILNS1_3genE5ELNS1_11target_archE942ELNS1_3gpuE9ELNS1_3repE0EEENS1_30default_config_static_selectorELNS0_4arch9wavefront6targetE0EEEvT1_,"axG",@progbits,_ZN7rocprim17ROCPRIM_400000_NS6detail17trampoline_kernelINS0_14default_configENS1_27scan_by_key_config_selectorImiEEZZNS1_16scan_by_key_implILNS1_25lookback_scan_determinismE0ELb0ES3_N6thrust23THRUST_200600_302600_NS18transform_iteratorI9row_indexNS9_17counting_iteratorImNS9_11use_defaultESD_SD_EESD_SD_EENS9_6detail15normal_iteratorINS9_10device_ptrIiEEEESK_iNS9_4plusIvEENS9_8equal_toIvEEiEE10hipError_tPvRmT2_T3_T4_T5_mT6_T7_P12ihipStream_tbENKUlT_T0_E_clISt17integral_constantIbLb0EES14_IbLb1EEEEDaS10_S11_EUlS10_E_NS1_11comp_targetILNS1_3genE5ELNS1_11target_archE942ELNS1_3gpuE9ELNS1_3repE0EEENS1_30default_config_static_selectorELNS0_4arch9wavefront6targetE0EEEvT1_,comdat
	.protected	_ZN7rocprim17ROCPRIM_400000_NS6detail17trampoline_kernelINS0_14default_configENS1_27scan_by_key_config_selectorImiEEZZNS1_16scan_by_key_implILNS1_25lookback_scan_determinismE0ELb0ES3_N6thrust23THRUST_200600_302600_NS18transform_iteratorI9row_indexNS9_17counting_iteratorImNS9_11use_defaultESD_SD_EESD_SD_EENS9_6detail15normal_iteratorINS9_10device_ptrIiEEEESK_iNS9_4plusIvEENS9_8equal_toIvEEiEE10hipError_tPvRmT2_T3_T4_T5_mT6_T7_P12ihipStream_tbENKUlT_T0_E_clISt17integral_constantIbLb0EES14_IbLb1EEEEDaS10_S11_EUlS10_E_NS1_11comp_targetILNS1_3genE5ELNS1_11target_archE942ELNS1_3gpuE9ELNS1_3repE0EEENS1_30default_config_static_selectorELNS0_4arch9wavefront6targetE0EEEvT1_ ; -- Begin function _ZN7rocprim17ROCPRIM_400000_NS6detail17trampoline_kernelINS0_14default_configENS1_27scan_by_key_config_selectorImiEEZZNS1_16scan_by_key_implILNS1_25lookback_scan_determinismE0ELb0ES3_N6thrust23THRUST_200600_302600_NS18transform_iteratorI9row_indexNS9_17counting_iteratorImNS9_11use_defaultESD_SD_EESD_SD_EENS9_6detail15normal_iteratorINS9_10device_ptrIiEEEESK_iNS9_4plusIvEENS9_8equal_toIvEEiEE10hipError_tPvRmT2_T3_T4_T5_mT6_T7_P12ihipStream_tbENKUlT_T0_E_clISt17integral_constantIbLb0EES14_IbLb1EEEEDaS10_S11_EUlS10_E_NS1_11comp_targetILNS1_3genE5ELNS1_11target_archE942ELNS1_3gpuE9ELNS1_3repE0EEENS1_30default_config_static_selectorELNS0_4arch9wavefront6targetE0EEEvT1_
	.globl	_ZN7rocprim17ROCPRIM_400000_NS6detail17trampoline_kernelINS0_14default_configENS1_27scan_by_key_config_selectorImiEEZZNS1_16scan_by_key_implILNS1_25lookback_scan_determinismE0ELb0ES3_N6thrust23THRUST_200600_302600_NS18transform_iteratorI9row_indexNS9_17counting_iteratorImNS9_11use_defaultESD_SD_EESD_SD_EENS9_6detail15normal_iteratorINS9_10device_ptrIiEEEESK_iNS9_4plusIvEENS9_8equal_toIvEEiEE10hipError_tPvRmT2_T3_T4_T5_mT6_T7_P12ihipStream_tbENKUlT_T0_E_clISt17integral_constantIbLb0EES14_IbLb1EEEEDaS10_S11_EUlS10_E_NS1_11comp_targetILNS1_3genE5ELNS1_11target_archE942ELNS1_3gpuE9ELNS1_3repE0EEENS1_30default_config_static_selectorELNS0_4arch9wavefront6targetE0EEEvT1_
	.p2align	8
	.type	_ZN7rocprim17ROCPRIM_400000_NS6detail17trampoline_kernelINS0_14default_configENS1_27scan_by_key_config_selectorImiEEZZNS1_16scan_by_key_implILNS1_25lookback_scan_determinismE0ELb0ES3_N6thrust23THRUST_200600_302600_NS18transform_iteratorI9row_indexNS9_17counting_iteratorImNS9_11use_defaultESD_SD_EESD_SD_EENS9_6detail15normal_iteratorINS9_10device_ptrIiEEEESK_iNS9_4plusIvEENS9_8equal_toIvEEiEE10hipError_tPvRmT2_T3_T4_T5_mT6_T7_P12ihipStream_tbENKUlT_T0_E_clISt17integral_constantIbLb0EES14_IbLb1EEEEDaS10_S11_EUlS10_E_NS1_11comp_targetILNS1_3genE5ELNS1_11target_archE942ELNS1_3gpuE9ELNS1_3repE0EEENS1_30default_config_static_selectorELNS0_4arch9wavefront6targetE0EEEvT1_,@function
_ZN7rocprim17ROCPRIM_400000_NS6detail17trampoline_kernelINS0_14default_configENS1_27scan_by_key_config_selectorImiEEZZNS1_16scan_by_key_implILNS1_25lookback_scan_determinismE0ELb0ES3_N6thrust23THRUST_200600_302600_NS18transform_iteratorI9row_indexNS9_17counting_iteratorImNS9_11use_defaultESD_SD_EESD_SD_EENS9_6detail15normal_iteratorINS9_10device_ptrIiEEEESK_iNS9_4plusIvEENS9_8equal_toIvEEiEE10hipError_tPvRmT2_T3_T4_T5_mT6_T7_P12ihipStream_tbENKUlT_T0_E_clISt17integral_constantIbLb0EES14_IbLb1EEEEDaS10_S11_EUlS10_E_NS1_11comp_targetILNS1_3genE5ELNS1_11target_archE942ELNS1_3gpuE9ELNS1_3repE0EEENS1_30default_config_static_selectorELNS0_4arch9wavefront6targetE0EEEvT1_: ; @_ZN7rocprim17ROCPRIM_400000_NS6detail17trampoline_kernelINS0_14default_configENS1_27scan_by_key_config_selectorImiEEZZNS1_16scan_by_key_implILNS1_25lookback_scan_determinismE0ELb0ES3_N6thrust23THRUST_200600_302600_NS18transform_iteratorI9row_indexNS9_17counting_iteratorImNS9_11use_defaultESD_SD_EESD_SD_EENS9_6detail15normal_iteratorINS9_10device_ptrIiEEEESK_iNS9_4plusIvEENS9_8equal_toIvEEiEE10hipError_tPvRmT2_T3_T4_T5_mT6_T7_P12ihipStream_tbENKUlT_T0_E_clISt17integral_constantIbLb0EES14_IbLb1EEEEDaS10_S11_EUlS10_E_NS1_11comp_targetILNS1_3genE5ELNS1_11target_archE942ELNS1_3gpuE9ELNS1_3repE0EEENS1_30default_config_static_selectorELNS0_4arch9wavefront6targetE0EEEvT1_
; %bb.0:
	.section	.rodata,"a",@progbits
	.p2align	6, 0x0
	.amdhsa_kernel _ZN7rocprim17ROCPRIM_400000_NS6detail17trampoline_kernelINS0_14default_configENS1_27scan_by_key_config_selectorImiEEZZNS1_16scan_by_key_implILNS1_25lookback_scan_determinismE0ELb0ES3_N6thrust23THRUST_200600_302600_NS18transform_iteratorI9row_indexNS9_17counting_iteratorImNS9_11use_defaultESD_SD_EESD_SD_EENS9_6detail15normal_iteratorINS9_10device_ptrIiEEEESK_iNS9_4plusIvEENS9_8equal_toIvEEiEE10hipError_tPvRmT2_T3_T4_T5_mT6_T7_P12ihipStream_tbENKUlT_T0_E_clISt17integral_constantIbLb0EES14_IbLb1EEEEDaS10_S11_EUlS10_E_NS1_11comp_targetILNS1_3genE5ELNS1_11target_archE942ELNS1_3gpuE9ELNS1_3repE0EEENS1_30default_config_static_selectorELNS0_4arch9wavefront6targetE0EEEvT1_
		.amdhsa_group_segment_fixed_size 0
		.amdhsa_private_segment_fixed_size 0
		.amdhsa_kernarg_size 120
		.amdhsa_user_sgpr_count 6
		.amdhsa_user_sgpr_private_segment_buffer 1
		.amdhsa_user_sgpr_dispatch_ptr 0
		.amdhsa_user_sgpr_queue_ptr 0
		.amdhsa_user_sgpr_kernarg_segment_ptr 1
		.amdhsa_user_sgpr_dispatch_id 0
		.amdhsa_user_sgpr_flat_scratch_init 0
		.amdhsa_user_sgpr_private_segment_size 0
		.amdhsa_wavefront_size32 1
		.amdhsa_uses_dynamic_stack 0
		.amdhsa_system_sgpr_private_segment_wavefront_offset 0
		.amdhsa_system_sgpr_workgroup_id_x 1
		.amdhsa_system_sgpr_workgroup_id_y 0
		.amdhsa_system_sgpr_workgroup_id_z 0
		.amdhsa_system_sgpr_workgroup_info 0
		.amdhsa_system_vgpr_workitem_id 0
		.amdhsa_next_free_vgpr 1
		.amdhsa_next_free_sgpr 1
		.amdhsa_reserve_vcc 0
		.amdhsa_reserve_flat_scratch 0
		.amdhsa_float_round_mode_32 0
		.amdhsa_float_round_mode_16_64 0
		.amdhsa_float_denorm_mode_32 3
		.amdhsa_float_denorm_mode_16_64 3
		.amdhsa_dx10_clamp 1
		.amdhsa_ieee_mode 1
		.amdhsa_fp16_overflow 0
		.amdhsa_workgroup_processor_mode 1
		.amdhsa_memory_ordered 1
		.amdhsa_forward_progress 1
		.amdhsa_shared_vgpr_count 0
		.amdhsa_exception_fp_ieee_invalid_op 0
		.amdhsa_exception_fp_denorm_src 0
		.amdhsa_exception_fp_ieee_div_zero 0
		.amdhsa_exception_fp_ieee_overflow 0
		.amdhsa_exception_fp_ieee_underflow 0
		.amdhsa_exception_fp_ieee_inexact 0
		.amdhsa_exception_int_div_zero 0
	.end_amdhsa_kernel
	.section	.text._ZN7rocprim17ROCPRIM_400000_NS6detail17trampoline_kernelINS0_14default_configENS1_27scan_by_key_config_selectorImiEEZZNS1_16scan_by_key_implILNS1_25lookback_scan_determinismE0ELb0ES3_N6thrust23THRUST_200600_302600_NS18transform_iteratorI9row_indexNS9_17counting_iteratorImNS9_11use_defaultESD_SD_EESD_SD_EENS9_6detail15normal_iteratorINS9_10device_ptrIiEEEESK_iNS9_4plusIvEENS9_8equal_toIvEEiEE10hipError_tPvRmT2_T3_T4_T5_mT6_T7_P12ihipStream_tbENKUlT_T0_E_clISt17integral_constantIbLb0EES14_IbLb1EEEEDaS10_S11_EUlS10_E_NS1_11comp_targetILNS1_3genE5ELNS1_11target_archE942ELNS1_3gpuE9ELNS1_3repE0EEENS1_30default_config_static_selectorELNS0_4arch9wavefront6targetE0EEEvT1_,"axG",@progbits,_ZN7rocprim17ROCPRIM_400000_NS6detail17trampoline_kernelINS0_14default_configENS1_27scan_by_key_config_selectorImiEEZZNS1_16scan_by_key_implILNS1_25lookback_scan_determinismE0ELb0ES3_N6thrust23THRUST_200600_302600_NS18transform_iteratorI9row_indexNS9_17counting_iteratorImNS9_11use_defaultESD_SD_EESD_SD_EENS9_6detail15normal_iteratorINS9_10device_ptrIiEEEESK_iNS9_4plusIvEENS9_8equal_toIvEEiEE10hipError_tPvRmT2_T3_T4_T5_mT6_T7_P12ihipStream_tbENKUlT_T0_E_clISt17integral_constantIbLb0EES14_IbLb1EEEEDaS10_S11_EUlS10_E_NS1_11comp_targetILNS1_3genE5ELNS1_11target_archE942ELNS1_3gpuE9ELNS1_3repE0EEENS1_30default_config_static_selectorELNS0_4arch9wavefront6targetE0EEEvT1_,comdat
.Lfunc_end38:
	.size	_ZN7rocprim17ROCPRIM_400000_NS6detail17trampoline_kernelINS0_14default_configENS1_27scan_by_key_config_selectorImiEEZZNS1_16scan_by_key_implILNS1_25lookback_scan_determinismE0ELb0ES3_N6thrust23THRUST_200600_302600_NS18transform_iteratorI9row_indexNS9_17counting_iteratorImNS9_11use_defaultESD_SD_EESD_SD_EENS9_6detail15normal_iteratorINS9_10device_ptrIiEEEESK_iNS9_4plusIvEENS9_8equal_toIvEEiEE10hipError_tPvRmT2_T3_T4_T5_mT6_T7_P12ihipStream_tbENKUlT_T0_E_clISt17integral_constantIbLb0EES14_IbLb1EEEEDaS10_S11_EUlS10_E_NS1_11comp_targetILNS1_3genE5ELNS1_11target_archE942ELNS1_3gpuE9ELNS1_3repE0EEENS1_30default_config_static_selectorELNS0_4arch9wavefront6targetE0EEEvT1_, .Lfunc_end38-_ZN7rocprim17ROCPRIM_400000_NS6detail17trampoline_kernelINS0_14default_configENS1_27scan_by_key_config_selectorImiEEZZNS1_16scan_by_key_implILNS1_25lookback_scan_determinismE0ELb0ES3_N6thrust23THRUST_200600_302600_NS18transform_iteratorI9row_indexNS9_17counting_iteratorImNS9_11use_defaultESD_SD_EESD_SD_EENS9_6detail15normal_iteratorINS9_10device_ptrIiEEEESK_iNS9_4plusIvEENS9_8equal_toIvEEiEE10hipError_tPvRmT2_T3_T4_T5_mT6_T7_P12ihipStream_tbENKUlT_T0_E_clISt17integral_constantIbLb0EES14_IbLb1EEEEDaS10_S11_EUlS10_E_NS1_11comp_targetILNS1_3genE5ELNS1_11target_archE942ELNS1_3gpuE9ELNS1_3repE0EEENS1_30default_config_static_selectorELNS0_4arch9wavefront6targetE0EEEvT1_
                                        ; -- End function
	.set _ZN7rocprim17ROCPRIM_400000_NS6detail17trampoline_kernelINS0_14default_configENS1_27scan_by_key_config_selectorImiEEZZNS1_16scan_by_key_implILNS1_25lookback_scan_determinismE0ELb0ES3_N6thrust23THRUST_200600_302600_NS18transform_iteratorI9row_indexNS9_17counting_iteratorImNS9_11use_defaultESD_SD_EESD_SD_EENS9_6detail15normal_iteratorINS9_10device_ptrIiEEEESK_iNS9_4plusIvEENS9_8equal_toIvEEiEE10hipError_tPvRmT2_T3_T4_T5_mT6_T7_P12ihipStream_tbENKUlT_T0_E_clISt17integral_constantIbLb0EES14_IbLb1EEEEDaS10_S11_EUlS10_E_NS1_11comp_targetILNS1_3genE5ELNS1_11target_archE942ELNS1_3gpuE9ELNS1_3repE0EEENS1_30default_config_static_selectorELNS0_4arch9wavefront6targetE0EEEvT1_.num_vgpr, 0
	.set _ZN7rocprim17ROCPRIM_400000_NS6detail17trampoline_kernelINS0_14default_configENS1_27scan_by_key_config_selectorImiEEZZNS1_16scan_by_key_implILNS1_25lookback_scan_determinismE0ELb0ES3_N6thrust23THRUST_200600_302600_NS18transform_iteratorI9row_indexNS9_17counting_iteratorImNS9_11use_defaultESD_SD_EESD_SD_EENS9_6detail15normal_iteratorINS9_10device_ptrIiEEEESK_iNS9_4plusIvEENS9_8equal_toIvEEiEE10hipError_tPvRmT2_T3_T4_T5_mT6_T7_P12ihipStream_tbENKUlT_T0_E_clISt17integral_constantIbLb0EES14_IbLb1EEEEDaS10_S11_EUlS10_E_NS1_11comp_targetILNS1_3genE5ELNS1_11target_archE942ELNS1_3gpuE9ELNS1_3repE0EEENS1_30default_config_static_selectorELNS0_4arch9wavefront6targetE0EEEvT1_.num_agpr, 0
	.set _ZN7rocprim17ROCPRIM_400000_NS6detail17trampoline_kernelINS0_14default_configENS1_27scan_by_key_config_selectorImiEEZZNS1_16scan_by_key_implILNS1_25lookback_scan_determinismE0ELb0ES3_N6thrust23THRUST_200600_302600_NS18transform_iteratorI9row_indexNS9_17counting_iteratorImNS9_11use_defaultESD_SD_EESD_SD_EENS9_6detail15normal_iteratorINS9_10device_ptrIiEEEESK_iNS9_4plusIvEENS9_8equal_toIvEEiEE10hipError_tPvRmT2_T3_T4_T5_mT6_T7_P12ihipStream_tbENKUlT_T0_E_clISt17integral_constantIbLb0EES14_IbLb1EEEEDaS10_S11_EUlS10_E_NS1_11comp_targetILNS1_3genE5ELNS1_11target_archE942ELNS1_3gpuE9ELNS1_3repE0EEENS1_30default_config_static_selectorELNS0_4arch9wavefront6targetE0EEEvT1_.numbered_sgpr, 0
	.set _ZN7rocprim17ROCPRIM_400000_NS6detail17trampoline_kernelINS0_14default_configENS1_27scan_by_key_config_selectorImiEEZZNS1_16scan_by_key_implILNS1_25lookback_scan_determinismE0ELb0ES3_N6thrust23THRUST_200600_302600_NS18transform_iteratorI9row_indexNS9_17counting_iteratorImNS9_11use_defaultESD_SD_EESD_SD_EENS9_6detail15normal_iteratorINS9_10device_ptrIiEEEESK_iNS9_4plusIvEENS9_8equal_toIvEEiEE10hipError_tPvRmT2_T3_T4_T5_mT6_T7_P12ihipStream_tbENKUlT_T0_E_clISt17integral_constantIbLb0EES14_IbLb1EEEEDaS10_S11_EUlS10_E_NS1_11comp_targetILNS1_3genE5ELNS1_11target_archE942ELNS1_3gpuE9ELNS1_3repE0EEENS1_30default_config_static_selectorELNS0_4arch9wavefront6targetE0EEEvT1_.num_named_barrier, 0
	.set _ZN7rocprim17ROCPRIM_400000_NS6detail17trampoline_kernelINS0_14default_configENS1_27scan_by_key_config_selectorImiEEZZNS1_16scan_by_key_implILNS1_25lookback_scan_determinismE0ELb0ES3_N6thrust23THRUST_200600_302600_NS18transform_iteratorI9row_indexNS9_17counting_iteratorImNS9_11use_defaultESD_SD_EESD_SD_EENS9_6detail15normal_iteratorINS9_10device_ptrIiEEEESK_iNS9_4plusIvEENS9_8equal_toIvEEiEE10hipError_tPvRmT2_T3_T4_T5_mT6_T7_P12ihipStream_tbENKUlT_T0_E_clISt17integral_constantIbLb0EES14_IbLb1EEEEDaS10_S11_EUlS10_E_NS1_11comp_targetILNS1_3genE5ELNS1_11target_archE942ELNS1_3gpuE9ELNS1_3repE0EEENS1_30default_config_static_selectorELNS0_4arch9wavefront6targetE0EEEvT1_.private_seg_size, 0
	.set _ZN7rocprim17ROCPRIM_400000_NS6detail17trampoline_kernelINS0_14default_configENS1_27scan_by_key_config_selectorImiEEZZNS1_16scan_by_key_implILNS1_25lookback_scan_determinismE0ELb0ES3_N6thrust23THRUST_200600_302600_NS18transform_iteratorI9row_indexNS9_17counting_iteratorImNS9_11use_defaultESD_SD_EESD_SD_EENS9_6detail15normal_iteratorINS9_10device_ptrIiEEEESK_iNS9_4plusIvEENS9_8equal_toIvEEiEE10hipError_tPvRmT2_T3_T4_T5_mT6_T7_P12ihipStream_tbENKUlT_T0_E_clISt17integral_constantIbLb0EES14_IbLb1EEEEDaS10_S11_EUlS10_E_NS1_11comp_targetILNS1_3genE5ELNS1_11target_archE942ELNS1_3gpuE9ELNS1_3repE0EEENS1_30default_config_static_selectorELNS0_4arch9wavefront6targetE0EEEvT1_.uses_vcc, 0
	.set _ZN7rocprim17ROCPRIM_400000_NS6detail17trampoline_kernelINS0_14default_configENS1_27scan_by_key_config_selectorImiEEZZNS1_16scan_by_key_implILNS1_25lookback_scan_determinismE0ELb0ES3_N6thrust23THRUST_200600_302600_NS18transform_iteratorI9row_indexNS9_17counting_iteratorImNS9_11use_defaultESD_SD_EESD_SD_EENS9_6detail15normal_iteratorINS9_10device_ptrIiEEEESK_iNS9_4plusIvEENS9_8equal_toIvEEiEE10hipError_tPvRmT2_T3_T4_T5_mT6_T7_P12ihipStream_tbENKUlT_T0_E_clISt17integral_constantIbLb0EES14_IbLb1EEEEDaS10_S11_EUlS10_E_NS1_11comp_targetILNS1_3genE5ELNS1_11target_archE942ELNS1_3gpuE9ELNS1_3repE0EEENS1_30default_config_static_selectorELNS0_4arch9wavefront6targetE0EEEvT1_.uses_flat_scratch, 0
	.set _ZN7rocprim17ROCPRIM_400000_NS6detail17trampoline_kernelINS0_14default_configENS1_27scan_by_key_config_selectorImiEEZZNS1_16scan_by_key_implILNS1_25lookback_scan_determinismE0ELb0ES3_N6thrust23THRUST_200600_302600_NS18transform_iteratorI9row_indexNS9_17counting_iteratorImNS9_11use_defaultESD_SD_EESD_SD_EENS9_6detail15normal_iteratorINS9_10device_ptrIiEEEESK_iNS9_4plusIvEENS9_8equal_toIvEEiEE10hipError_tPvRmT2_T3_T4_T5_mT6_T7_P12ihipStream_tbENKUlT_T0_E_clISt17integral_constantIbLb0EES14_IbLb1EEEEDaS10_S11_EUlS10_E_NS1_11comp_targetILNS1_3genE5ELNS1_11target_archE942ELNS1_3gpuE9ELNS1_3repE0EEENS1_30default_config_static_selectorELNS0_4arch9wavefront6targetE0EEEvT1_.has_dyn_sized_stack, 0
	.set _ZN7rocprim17ROCPRIM_400000_NS6detail17trampoline_kernelINS0_14default_configENS1_27scan_by_key_config_selectorImiEEZZNS1_16scan_by_key_implILNS1_25lookback_scan_determinismE0ELb0ES3_N6thrust23THRUST_200600_302600_NS18transform_iteratorI9row_indexNS9_17counting_iteratorImNS9_11use_defaultESD_SD_EESD_SD_EENS9_6detail15normal_iteratorINS9_10device_ptrIiEEEESK_iNS9_4plusIvEENS9_8equal_toIvEEiEE10hipError_tPvRmT2_T3_T4_T5_mT6_T7_P12ihipStream_tbENKUlT_T0_E_clISt17integral_constantIbLb0EES14_IbLb1EEEEDaS10_S11_EUlS10_E_NS1_11comp_targetILNS1_3genE5ELNS1_11target_archE942ELNS1_3gpuE9ELNS1_3repE0EEENS1_30default_config_static_selectorELNS0_4arch9wavefront6targetE0EEEvT1_.has_recursion, 0
	.set _ZN7rocprim17ROCPRIM_400000_NS6detail17trampoline_kernelINS0_14default_configENS1_27scan_by_key_config_selectorImiEEZZNS1_16scan_by_key_implILNS1_25lookback_scan_determinismE0ELb0ES3_N6thrust23THRUST_200600_302600_NS18transform_iteratorI9row_indexNS9_17counting_iteratorImNS9_11use_defaultESD_SD_EESD_SD_EENS9_6detail15normal_iteratorINS9_10device_ptrIiEEEESK_iNS9_4plusIvEENS9_8equal_toIvEEiEE10hipError_tPvRmT2_T3_T4_T5_mT6_T7_P12ihipStream_tbENKUlT_T0_E_clISt17integral_constantIbLb0EES14_IbLb1EEEEDaS10_S11_EUlS10_E_NS1_11comp_targetILNS1_3genE5ELNS1_11target_archE942ELNS1_3gpuE9ELNS1_3repE0EEENS1_30default_config_static_selectorELNS0_4arch9wavefront6targetE0EEEvT1_.has_indirect_call, 0
	.section	.AMDGPU.csdata,"",@progbits
; Kernel info:
; codeLenInByte = 0
; TotalNumSgprs: 0
; NumVgprs: 0
; ScratchSize: 0
; MemoryBound: 0
; FloatMode: 240
; IeeeMode: 1
; LDSByteSize: 0 bytes/workgroup (compile time only)
; SGPRBlocks: 0
; VGPRBlocks: 0
; NumSGPRsForWavesPerEU: 1
; NumVGPRsForWavesPerEU: 1
; Occupancy: 16
; WaveLimiterHint : 0
; COMPUTE_PGM_RSRC2:SCRATCH_EN: 0
; COMPUTE_PGM_RSRC2:USER_SGPR: 6
; COMPUTE_PGM_RSRC2:TRAP_HANDLER: 0
; COMPUTE_PGM_RSRC2:TGID_X_EN: 1
; COMPUTE_PGM_RSRC2:TGID_Y_EN: 0
; COMPUTE_PGM_RSRC2:TGID_Z_EN: 0
; COMPUTE_PGM_RSRC2:TIDIG_COMP_CNT: 0
	.section	.text._ZN7rocprim17ROCPRIM_400000_NS6detail17trampoline_kernelINS0_14default_configENS1_27scan_by_key_config_selectorImiEEZZNS1_16scan_by_key_implILNS1_25lookback_scan_determinismE0ELb0ES3_N6thrust23THRUST_200600_302600_NS18transform_iteratorI9row_indexNS9_17counting_iteratorImNS9_11use_defaultESD_SD_EESD_SD_EENS9_6detail15normal_iteratorINS9_10device_ptrIiEEEESK_iNS9_4plusIvEENS9_8equal_toIvEEiEE10hipError_tPvRmT2_T3_T4_T5_mT6_T7_P12ihipStream_tbENKUlT_T0_E_clISt17integral_constantIbLb0EES14_IbLb1EEEEDaS10_S11_EUlS10_E_NS1_11comp_targetILNS1_3genE4ELNS1_11target_archE910ELNS1_3gpuE8ELNS1_3repE0EEENS1_30default_config_static_selectorELNS0_4arch9wavefront6targetE0EEEvT1_,"axG",@progbits,_ZN7rocprim17ROCPRIM_400000_NS6detail17trampoline_kernelINS0_14default_configENS1_27scan_by_key_config_selectorImiEEZZNS1_16scan_by_key_implILNS1_25lookback_scan_determinismE0ELb0ES3_N6thrust23THRUST_200600_302600_NS18transform_iteratorI9row_indexNS9_17counting_iteratorImNS9_11use_defaultESD_SD_EESD_SD_EENS9_6detail15normal_iteratorINS9_10device_ptrIiEEEESK_iNS9_4plusIvEENS9_8equal_toIvEEiEE10hipError_tPvRmT2_T3_T4_T5_mT6_T7_P12ihipStream_tbENKUlT_T0_E_clISt17integral_constantIbLb0EES14_IbLb1EEEEDaS10_S11_EUlS10_E_NS1_11comp_targetILNS1_3genE4ELNS1_11target_archE910ELNS1_3gpuE8ELNS1_3repE0EEENS1_30default_config_static_selectorELNS0_4arch9wavefront6targetE0EEEvT1_,comdat
	.protected	_ZN7rocprim17ROCPRIM_400000_NS6detail17trampoline_kernelINS0_14default_configENS1_27scan_by_key_config_selectorImiEEZZNS1_16scan_by_key_implILNS1_25lookback_scan_determinismE0ELb0ES3_N6thrust23THRUST_200600_302600_NS18transform_iteratorI9row_indexNS9_17counting_iteratorImNS9_11use_defaultESD_SD_EESD_SD_EENS9_6detail15normal_iteratorINS9_10device_ptrIiEEEESK_iNS9_4plusIvEENS9_8equal_toIvEEiEE10hipError_tPvRmT2_T3_T4_T5_mT6_T7_P12ihipStream_tbENKUlT_T0_E_clISt17integral_constantIbLb0EES14_IbLb1EEEEDaS10_S11_EUlS10_E_NS1_11comp_targetILNS1_3genE4ELNS1_11target_archE910ELNS1_3gpuE8ELNS1_3repE0EEENS1_30default_config_static_selectorELNS0_4arch9wavefront6targetE0EEEvT1_ ; -- Begin function _ZN7rocprim17ROCPRIM_400000_NS6detail17trampoline_kernelINS0_14default_configENS1_27scan_by_key_config_selectorImiEEZZNS1_16scan_by_key_implILNS1_25lookback_scan_determinismE0ELb0ES3_N6thrust23THRUST_200600_302600_NS18transform_iteratorI9row_indexNS9_17counting_iteratorImNS9_11use_defaultESD_SD_EESD_SD_EENS9_6detail15normal_iteratorINS9_10device_ptrIiEEEESK_iNS9_4plusIvEENS9_8equal_toIvEEiEE10hipError_tPvRmT2_T3_T4_T5_mT6_T7_P12ihipStream_tbENKUlT_T0_E_clISt17integral_constantIbLb0EES14_IbLb1EEEEDaS10_S11_EUlS10_E_NS1_11comp_targetILNS1_3genE4ELNS1_11target_archE910ELNS1_3gpuE8ELNS1_3repE0EEENS1_30default_config_static_selectorELNS0_4arch9wavefront6targetE0EEEvT1_
	.globl	_ZN7rocprim17ROCPRIM_400000_NS6detail17trampoline_kernelINS0_14default_configENS1_27scan_by_key_config_selectorImiEEZZNS1_16scan_by_key_implILNS1_25lookback_scan_determinismE0ELb0ES3_N6thrust23THRUST_200600_302600_NS18transform_iteratorI9row_indexNS9_17counting_iteratorImNS9_11use_defaultESD_SD_EESD_SD_EENS9_6detail15normal_iteratorINS9_10device_ptrIiEEEESK_iNS9_4plusIvEENS9_8equal_toIvEEiEE10hipError_tPvRmT2_T3_T4_T5_mT6_T7_P12ihipStream_tbENKUlT_T0_E_clISt17integral_constantIbLb0EES14_IbLb1EEEEDaS10_S11_EUlS10_E_NS1_11comp_targetILNS1_3genE4ELNS1_11target_archE910ELNS1_3gpuE8ELNS1_3repE0EEENS1_30default_config_static_selectorELNS0_4arch9wavefront6targetE0EEEvT1_
	.p2align	8
	.type	_ZN7rocprim17ROCPRIM_400000_NS6detail17trampoline_kernelINS0_14default_configENS1_27scan_by_key_config_selectorImiEEZZNS1_16scan_by_key_implILNS1_25lookback_scan_determinismE0ELb0ES3_N6thrust23THRUST_200600_302600_NS18transform_iteratorI9row_indexNS9_17counting_iteratorImNS9_11use_defaultESD_SD_EESD_SD_EENS9_6detail15normal_iteratorINS9_10device_ptrIiEEEESK_iNS9_4plusIvEENS9_8equal_toIvEEiEE10hipError_tPvRmT2_T3_T4_T5_mT6_T7_P12ihipStream_tbENKUlT_T0_E_clISt17integral_constantIbLb0EES14_IbLb1EEEEDaS10_S11_EUlS10_E_NS1_11comp_targetILNS1_3genE4ELNS1_11target_archE910ELNS1_3gpuE8ELNS1_3repE0EEENS1_30default_config_static_selectorELNS0_4arch9wavefront6targetE0EEEvT1_,@function
_ZN7rocprim17ROCPRIM_400000_NS6detail17trampoline_kernelINS0_14default_configENS1_27scan_by_key_config_selectorImiEEZZNS1_16scan_by_key_implILNS1_25lookback_scan_determinismE0ELb0ES3_N6thrust23THRUST_200600_302600_NS18transform_iteratorI9row_indexNS9_17counting_iteratorImNS9_11use_defaultESD_SD_EESD_SD_EENS9_6detail15normal_iteratorINS9_10device_ptrIiEEEESK_iNS9_4plusIvEENS9_8equal_toIvEEiEE10hipError_tPvRmT2_T3_T4_T5_mT6_T7_P12ihipStream_tbENKUlT_T0_E_clISt17integral_constantIbLb0EES14_IbLb1EEEEDaS10_S11_EUlS10_E_NS1_11comp_targetILNS1_3genE4ELNS1_11target_archE910ELNS1_3gpuE8ELNS1_3repE0EEENS1_30default_config_static_selectorELNS0_4arch9wavefront6targetE0EEEvT1_: ; @_ZN7rocprim17ROCPRIM_400000_NS6detail17trampoline_kernelINS0_14default_configENS1_27scan_by_key_config_selectorImiEEZZNS1_16scan_by_key_implILNS1_25lookback_scan_determinismE0ELb0ES3_N6thrust23THRUST_200600_302600_NS18transform_iteratorI9row_indexNS9_17counting_iteratorImNS9_11use_defaultESD_SD_EESD_SD_EENS9_6detail15normal_iteratorINS9_10device_ptrIiEEEESK_iNS9_4plusIvEENS9_8equal_toIvEEiEE10hipError_tPvRmT2_T3_T4_T5_mT6_T7_P12ihipStream_tbENKUlT_T0_E_clISt17integral_constantIbLb0EES14_IbLb1EEEEDaS10_S11_EUlS10_E_NS1_11comp_targetILNS1_3genE4ELNS1_11target_archE910ELNS1_3gpuE8ELNS1_3repE0EEENS1_30default_config_static_selectorELNS0_4arch9wavefront6targetE0EEEvT1_
; %bb.0:
	.section	.rodata,"a",@progbits
	.p2align	6, 0x0
	.amdhsa_kernel _ZN7rocprim17ROCPRIM_400000_NS6detail17trampoline_kernelINS0_14default_configENS1_27scan_by_key_config_selectorImiEEZZNS1_16scan_by_key_implILNS1_25lookback_scan_determinismE0ELb0ES3_N6thrust23THRUST_200600_302600_NS18transform_iteratorI9row_indexNS9_17counting_iteratorImNS9_11use_defaultESD_SD_EESD_SD_EENS9_6detail15normal_iteratorINS9_10device_ptrIiEEEESK_iNS9_4plusIvEENS9_8equal_toIvEEiEE10hipError_tPvRmT2_T3_T4_T5_mT6_T7_P12ihipStream_tbENKUlT_T0_E_clISt17integral_constantIbLb0EES14_IbLb1EEEEDaS10_S11_EUlS10_E_NS1_11comp_targetILNS1_3genE4ELNS1_11target_archE910ELNS1_3gpuE8ELNS1_3repE0EEENS1_30default_config_static_selectorELNS0_4arch9wavefront6targetE0EEEvT1_
		.amdhsa_group_segment_fixed_size 0
		.amdhsa_private_segment_fixed_size 0
		.amdhsa_kernarg_size 120
		.amdhsa_user_sgpr_count 6
		.amdhsa_user_sgpr_private_segment_buffer 1
		.amdhsa_user_sgpr_dispatch_ptr 0
		.amdhsa_user_sgpr_queue_ptr 0
		.amdhsa_user_sgpr_kernarg_segment_ptr 1
		.amdhsa_user_sgpr_dispatch_id 0
		.amdhsa_user_sgpr_flat_scratch_init 0
		.amdhsa_user_sgpr_private_segment_size 0
		.amdhsa_wavefront_size32 1
		.amdhsa_uses_dynamic_stack 0
		.amdhsa_system_sgpr_private_segment_wavefront_offset 0
		.amdhsa_system_sgpr_workgroup_id_x 1
		.amdhsa_system_sgpr_workgroup_id_y 0
		.amdhsa_system_sgpr_workgroup_id_z 0
		.amdhsa_system_sgpr_workgroup_info 0
		.amdhsa_system_vgpr_workitem_id 0
		.amdhsa_next_free_vgpr 1
		.amdhsa_next_free_sgpr 1
		.amdhsa_reserve_vcc 0
		.amdhsa_reserve_flat_scratch 0
		.amdhsa_float_round_mode_32 0
		.amdhsa_float_round_mode_16_64 0
		.amdhsa_float_denorm_mode_32 3
		.amdhsa_float_denorm_mode_16_64 3
		.amdhsa_dx10_clamp 1
		.amdhsa_ieee_mode 1
		.amdhsa_fp16_overflow 0
		.amdhsa_workgroup_processor_mode 1
		.amdhsa_memory_ordered 1
		.amdhsa_forward_progress 1
		.amdhsa_shared_vgpr_count 0
		.amdhsa_exception_fp_ieee_invalid_op 0
		.amdhsa_exception_fp_denorm_src 0
		.amdhsa_exception_fp_ieee_div_zero 0
		.amdhsa_exception_fp_ieee_overflow 0
		.amdhsa_exception_fp_ieee_underflow 0
		.amdhsa_exception_fp_ieee_inexact 0
		.amdhsa_exception_int_div_zero 0
	.end_amdhsa_kernel
	.section	.text._ZN7rocprim17ROCPRIM_400000_NS6detail17trampoline_kernelINS0_14default_configENS1_27scan_by_key_config_selectorImiEEZZNS1_16scan_by_key_implILNS1_25lookback_scan_determinismE0ELb0ES3_N6thrust23THRUST_200600_302600_NS18transform_iteratorI9row_indexNS9_17counting_iteratorImNS9_11use_defaultESD_SD_EESD_SD_EENS9_6detail15normal_iteratorINS9_10device_ptrIiEEEESK_iNS9_4plusIvEENS9_8equal_toIvEEiEE10hipError_tPvRmT2_T3_T4_T5_mT6_T7_P12ihipStream_tbENKUlT_T0_E_clISt17integral_constantIbLb0EES14_IbLb1EEEEDaS10_S11_EUlS10_E_NS1_11comp_targetILNS1_3genE4ELNS1_11target_archE910ELNS1_3gpuE8ELNS1_3repE0EEENS1_30default_config_static_selectorELNS0_4arch9wavefront6targetE0EEEvT1_,"axG",@progbits,_ZN7rocprim17ROCPRIM_400000_NS6detail17trampoline_kernelINS0_14default_configENS1_27scan_by_key_config_selectorImiEEZZNS1_16scan_by_key_implILNS1_25lookback_scan_determinismE0ELb0ES3_N6thrust23THRUST_200600_302600_NS18transform_iteratorI9row_indexNS9_17counting_iteratorImNS9_11use_defaultESD_SD_EESD_SD_EENS9_6detail15normal_iteratorINS9_10device_ptrIiEEEESK_iNS9_4plusIvEENS9_8equal_toIvEEiEE10hipError_tPvRmT2_T3_T4_T5_mT6_T7_P12ihipStream_tbENKUlT_T0_E_clISt17integral_constantIbLb0EES14_IbLb1EEEEDaS10_S11_EUlS10_E_NS1_11comp_targetILNS1_3genE4ELNS1_11target_archE910ELNS1_3gpuE8ELNS1_3repE0EEENS1_30default_config_static_selectorELNS0_4arch9wavefront6targetE0EEEvT1_,comdat
.Lfunc_end39:
	.size	_ZN7rocprim17ROCPRIM_400000_NS6detail17trampoline_kernelINS0_14default_configENS1_27scan_by_key_config_selectorImiEEZZNS1_16scan_by_key_implILNS1_25lookback_scan_determinismE0ELb0ES3_N6thrust23THRUST_200600_302600_NS18transform_iteratorI9row_indexNS9_17counting_iteratorImNS9_11use_defaultESD_SD_EESD_SD_EENS9_6detail15normal_iteratorINS9_10device_ptrIiEEEESK_iNS9_4plusIvEENS9_8equal_toIvEEiEE10hipError_tPvRmT2_T3_T4_T5_mT6_T7_P12ihipStream_tbENKUlT_T0_E_clISt17integral_constantIbLb0EES14_IbLb1EEEEDaS10_S11_EUlS10_E_NS1_11comp_targetILNS1_3genE4ELNS1_11target_archE910ELNS1_3gpuE8ELNS1_3repE0EEENS1_30default_config_static_selectorELNS0_4arch9wavefront6targetE0EEEvT1_, .Lfunc_end39-_ZN7rocprim17ROCPRIM_400000_NS6detail17trampoline_kernelINS0_14default_configENS1_27scan_by_key_config_selectorImiEEZZNS1_16scan_by_key_implILNS1_25lookback_scan_determinismE0ELb0ES3_N6thrust23THRUST_200600_302600_NS18transform_iteratorI9row_indexNS9_17counting_iteratorImNS9_11use_defaultESD_SD_EESD_SD_EENS9_6detail15normal_iteratorINS9_10device_ptrIiEEEESK_iNS9_4plusIvEENS9_8equal_toIvEEiEE10hipError_tPvRmT2_T3_T4_T5_mT6_T7_P12ihipStream_tbENKUlT_T0_E_clISt17integral_constantIbLb0EES14_IbLb1EEEEDaS10_S11_EUlS10_E_NS1_11comp_targetILNS1_3genE4ELNS1_11target_archE910ELNS1_3gpuE8ELNS1_3repE0EEENS1_30default_config_static_selectorELNS0_4arch9wavefront6targetE0EEEvT1_
                                        ; -- End function
	.set _ZN7rocprim17ROCPRIM_400000_NS6detail17trampoline_kernelINS0_14default_configENS1_27scan_by_key_config_selectorImiEEZZNS1_16scan_by_key_implILNS1_25lookback_scan_determinismE0ELb0ES3_N6thrust23THRUST_200600_302600_NS18transform_iteratorI9row_indexNS9_17counting_iteratorImNS9_11use_defaultESD_SD_EESD_SD_EENS9_6detail15normal_iteratorINS9_10device_ptrIiEEEESK_iNS9_4plusIvEENS9_8equal_toIvEEiEE10hipError_tPvRmT2_T3_T4_T5_mT6_T7_P12ihipStream_tbENKUlT_T0_E_clISt17integral_constantIbLb0EES14_IbLb1EEEEDaS10_S11_EUlS10_E_NS1_11comp_targetILNS1_3genE4ELNS1_11target_archE910ELNS1_3gpuE8ELNS1_3repE0EEENS1_30default_config_static_selectorELNS0_4arch9wavefront6targetE0EEEvT1_.num_vgpr, 0
	.set _ZN7rocprim17ROCPRIM_400000_NS6detail17trampoline_kernelINS0_14default_configENS1_27scan_by_key_config_selectorImiEEZZNS1_16scan_by_key_implILNS1_25lookback_scan_determinismE0ELb0ES3_N6thrust23THRUST_200600_302600_NS18transform_iteratorI9row_indexNS9_17counting_iteratorImNS9_11use_defaultESD_SD_EESD_SD_EENS9_6detail15normal_iteratorINS9_10device_ptrIiEEEESK_iNS9_4plusIvEENS9_8equal_toIvEEiEE10hipError_tPvRmT2_T3_T4_T5_mT6_T7_P12ihipStream_tbENKUlT_T0_E_clISt17integral_constantIbLb0EES14_IbLb1EEEEDaS10_S11_EUlS10_E_NS1_11comp_targetILNS1_3genE4ELNS1_11target_archE910ELNS1_3gpuE8ELNS1_3repE0EEENS1_30default_config_static_selectorELNS0_4arch9wavefront6targetE0EEEvT1_.num_agpr, 0
	.set _ZN7rocprim17ROCPRIM_400000_NS6detail17trampoline_kernelINS0_14default_configENS1_27scan_by_key_config_selectorImiEEZZNS1_16scan_by_key_implILNS1_25lookback_scan_determinismE0ELb0ES3_N6thrust23THRUST_200600_302600_NS18transform_iteratorI9row_indexNS9_17counting_iteratorImNS9_11use_defaultESD_SD_EESD_SD_EENS9_6detail15normal_iteratorINS9_10device_ptrIiEEEESK_iNS9_4plusIvEENS9_8equal_toIvEEiEE10hipError_tPvRmT2_T3_T4_T5_mT6_T7_P12ihipStream_tbENKUlT_T0_E_clISt17integral_constantIbLb0EES14_IbLb1EEEEDaS10_S11_EUlS10_E_NS1_11comp_targetILNS1_3genE4ELNS1_11target_archE910ELNS1_3gpuE8ELNS1_3repE0EEENS1_30default_config_static_selectorELNS0_4arch9wavefront6targetE0EEEvT1_.numbered_sgpr, 0
	.set _ZN7rocprim17ROCPRIM_400000_NS6detail17trampoline_kernelINS0_14default_configENS1_27scan_by_key_config_selectorImiEEZZNS1_16scan_by_key_implILNS1_25lookback_scan_determinismE0ELb0ES3_N6thrust23THRUST_200600_302600_NS18transform_iteratorI9row_indexNS9_17counting_iteratorImNS9_11use_defaultESD_SD_EESD_SD_EENS9_6detail15normal_iteratorINS9_10device_ptrIiEEEESK_iNS9_4plusIvEENS9_8equal_toIvEEiEE10hipError_tPvRmT2_T3_T4_T5_mT6_T7_P12ihipStream_tbENKUlT_T0_E_clISt17integral_constantIbLb0EES14_IbLb1EEEEDaS10_S11_EUlS10_E_NS1_11comp_targetILNS1_3genE4ELNS1_11target_archE910ELNS1_3gpuE8ELNS1_3repE0EEENS1_30default_config_static_selectorELNS0_4arch9wavefront6targetE0EEEvT1_.num_named_barrier, 0
	.set _ZN7rocprim17ROCPRIM_400000_NS6detail17trampoline_kernelINS0_14default_configENS1_27scan_by_key_config_selectorImiEEZZNS1_16scan_by_key_implILNS1_25lookback_scan_determinismE0ELb0ES3_N6thrust23THRUST_200600_302600_NS18transform_iteratorI9row_indexNS9_17counting_iteratorImNS9_11use_defaultESD_SD_EESD_SD_EENS9_6detail15normal_iteratorINS9_10device_ptrIiEEEESK_iNS9_4plusIvEENS9_8equal_toIvEEiEE10hipError_tPvRmT2_T3_T4_T5_mT6_T7_P12ihipStream_tbENKUlT_T0_E_clISt17integral_constantIbLb0EES14_IbLb1EEEEDaS10_S11_EUlS10_E_NS1_11comp_targetILNS1_3genE4ELNS1_11target_archE910ELNS1_3gpuE8ELNS1_3repE0EEENS1_30default_config_static_selectorELNS0_4arch9wavefront6targetE0EEEvT1_.private_seg_size, 0
	.set _ZN7rocprim17ROCPRIM_400000_NS6detail17trampoline_kernelINS0_14default_configENS1_27scan_by_key_config_selectorImiEEZZNS1_16scan_by_key_implILNS1_25lookback_scan_determinismE0ELb0ES3_N6thrust23THRUST_200600_302600_NS18transform_iteratorI9row_indexNS9_17counting_iteratorImNS9_11use_defaultESD_SD_EESD_SD_EENS9_6detail15normal_iteratorINS9_10device_ptrIiEEEESK_iNS9_4plusIvEENS9_8equal_toIvEEiEE10hipError_tPvRmT2_T3_T4_T5_mT6_T7_P12ihipStream_tbENKUlT_T0_E_clISt17integral_constantIbLb0EES14_IbLb1EEEEDaS10_S11_EUlS10_E_NS1_11comp_targetILNS1_3genE4ELNS1_11target_archE910ELNS1_3gpuE8ELNS1_3repE0EEENS1_30default_config_static_selectorELNS0_4arch9wavefront6targetE0EEEvT1_.uses_vcc, 0
	.set _ZN7rocprim17ROCPRIM_400000_NS6detail17trampoline_kernelINS0_14default_configENS1_27scan_by_key_config_selectorImiEEZZNS1_16scan_by_key_implILNS1_25lookback_scan_determinismE0ELb0ES3_N6thrust23THRUST_200600_302600_NS18transform_iteratorI9row_indexNS9_17counting_iteratorImNS9_11use_defaultESD_SD_EESD_SD_EENS9_6detail15normal_iteratorINS9_10device_ptrIiEEEESK_iNS9_4plusIvEENS9_8equal_toIvEEiEE10hipError_tPvRmT2_T3_T4_T5_mT6_T7_P12ihipStream_tbENKUlT_T0_E_clISt17integral_constantIbLb0EES14_IbLb1EEEEDaS10_S11_EUlS10_E_NS1_11comp_targetILNS1_3genE4ELNS1_11target_archE910ELNS1_3gpuE8ELNS1_3repE0EEENS1_30default_config_static_selectorELNS0_4arch9wavefront6targetE0EEEvT1_.uses_flat_scratch, 0
	.set _ZN7rocprim17ROCPRIM_400000_NS6detail17trampoline_kernelINS0_14default_configENS1_27scan_by_key_config_selectorImiEEZZNS1_16scan_by_key_implILNS1_25lookback_scan_determinismE0ELb0ES3_N6thrust23THRUST_200600_302600_NS18transform_iteratorI9row_indexNS9_17counting_iteratorImNS9_11use_defaultESD_SD_EESD_SD_EENS9_6detail15normal_iteratorINS9_10device_ptrIiEEEESK_iNS9_4plusIvEENS9_8equal_toIvEEiEE10hipError_tPvRmT2_T3_T4_T5_mT6_T7_P12ihipStream_tbENKUlT_T0_E_clISt17integral_constantIbLb0EES14_IbLb1EEEEDaS10_S11_EUlS10_E_NS1_11comp_targetILNS1_3genE4ELNS1_11target_archE910ELNS1_3gpuE8ELNS1_3repE0EEENS1_30default_config_static_selectorELNS0_4arch9wavefront6targetE0EEEvT1_.has_dyn_sized_stack, 0
	.set _ZN7rocprim17ROCPRIM_400000_NS6detail17trampoline_kernelINS0_14default_configENS1_27scan_by_key_config_selectorImiEEZZNS1_16scan_by_key_implILNS1_25lookback_scan_determinismE0ELb0ES3_N6thrust23THRUST_200600_302600_NS18transform_iteratorI9row_indexNS9_17counting_iteratorImNS9_11use_defaultESD_SD_EESD_SD_EENS9_6detail15normal_iteratorINS9_10device_ptrIiEEEESK_iNS9_4plusIvEENS9_8equal_toIvEEiEE10hipError_tPvRmT2_T3_T4_T5_mT6_T7_P12ihipStream_tbENKUlT_T0_E_clISt17integral_constantIbLb0EES14_IbLb1EEEEDaS10_S11_EUlS10_E_NS1_11comp_targetILNS1_3genE4ELNS1_11target_archE910ELNS1_3gpuE8ELNS1_3repE0EEENS1_30default_config_static_selectorELNS0_4arch9wavefront6targetE0EEEvT1_.has_recursion, 0
	.set _ZN7rocprim17ROCPRIM_400000_NS6detail17trampoline_kernelINS0_14default_configENS1_27scan_by_key_config_selectorImiEEZZNS1_16scan_by_key_implILNS1_25lookback_scan_determinismE0ELb0ES3_N6thrust23THRUST_200600_302600_NS18transform_iteratorI9row_indexNS9_17counting_iteratorImNS9_11use_defaultESD_SD_EESD_SD_EENS9_6detail15normal_iteratorINS9_10device_ptrIiEEEESK_iNS9_4plusIvEENS9_8equal_toIvEEiEE10hipError_tPvRmT2_T3_T4_T5_mT6_T7_P12ihipStream_tbENKUlT_T0_E_clISt17integral_constantIbLb0EES14_IbLb1EEEEDaS10_S11_EUlS10_E_NS1_11comp_targetILNS1_3genE4ELNS1_11target_archE910ELNS1_3gpuE8ELNS1_3repE0EEENS1_30default_config_static_selectorELNS0_4arch9wavefront6targetE0EEEvT1_.has_indirect_call, 0
	.section	.AMDGPU.csdata,"",@progbits
; Kernel info:
; codeLenInByte = 0
; TotalNumSgprs: 0
; NumVgprs: 0
; ScratchSize: 0
; MemoryBound: 0
; FloatMode: 240
; IeeeMode: 1
; LDSByteSize: 0 bytes/workgroup (compile time only)
; SGPRBlocks: 0
; VGPRBlocks: 0
; NumSGPRsForWavesPerEU: 1
; NumVGPRsForWavesPerEU: 1
; Occupancy: 16
; WaveLimiterHint : 0
; COMPUTE_PGM_RSRC2:SCRATCH_EN: 0
; COMPUTE_PGM_RSRC2:USER_SGPR: 6
; COMPUTE_PGM_RSRC2:TRAP_HANDLER: 0
; COMPUTE_PGM_RSRC2:TGID_X_EN: 1
; COMPUTE_PGM_RSRC2:TGID_Y_EN: 0
; COMPUTE_PGM_RSRC2:TGID_Z_EN: 0
; COMPUTE_PGM_RSRC2:TIDIG_COMP_CNT: 0
	.section	.text._ZN7rocprim17ROCPRIM_400000_NS6detail17trampoline_kernelINS0_14default_configENS1_27scan_by_key_config_selectorImiEEZZNS1_16scan_by_key_implILNS1_25lookback_scan_determinismE0ELb0ES3_N6thrust23THRUST_200600_302600_NS18transform_iteratorI9row_indexNS9_17counting_iteratorImNS9_11use_defaultESD_SD_EESD_SD_EENS9_6detail15normal_iteratorINS9_10device_ptrIiEEEESK_iNS9_4plusIvEENS9_8equal_toIvEEiEE10hipError_tPvRmT2_T3_T4_T5_mT6_T7_P12ihipStream_tbENKUlT_T0_E_clISt17integral_constantIbLb0EES14_IbLb1EEEEDaS10_S11_EUlS10_E_NS1_11comp_targetILNS1_3genE3ELNS1_11target_archE908ELNS1_3gpuE7ELNS1_3repE0EEENS1_30default_config_static_selectorELNS0_4arch9wavefront6targetE0EEEvT1_,"axG",@progbits,_ZN7rocprim17ROCPRIM_400000_NS6detail17trampoline_kernelINS0_14default_configENS1_27scan_by_key_config_selectorImiEEZZNS1_16scan_by_key_implILNS1_25lookback_scan_determinismE0ELb0ES3_N6thrust23THRUST_200600_302600_NS18transform_iteratorI9row_indexNS9_17counting_iteratorImNS9_11use_defaultESD_SD_EESD_SD_EENS9_6detail15normal_iteratorINS9_10device_ptrIiEEEESK_iNS9_4plusIvEENS9_8equal_toIvEEiEE10hipError_tPvRmT2_T3_T4_T5_mT6_T7_P12ihipStream_tbENKUlT_T0_E_clISt17integral_constantIbLb0EES14_IbLb1EEEEDaS10_S11_EUlS10_E_NS1_11comp_targetILNS1_3genE3ELNS1_11target_archE908ELNS1_3gpuE7ELNS1_3repE0EEENS1_30default_config_static_selectorELNS0_4arch9wavefront6targetE0EEEvT1_,comdat
	.protected	_ZN7rocprim17ROCPRIM_400000_NS6detail17trampoline_kernelINS0_14default_configENS1_27scan_by_key_config_selectorImiEEZZNS1_16scan_by_key_implILNS1_25lookback_scan_determinismE0ELb0ES3_N6thrust23THRUST_200600_302600_NS18transform_iteratorI9row_indexNS9_17counting_iteratorImNS9_11use_defaultESD_SD_EESD_SD_EENS9_6detail15normal_iteratorINS9_10device_ptrIiEEEESK_iNS9_4plusIvEENS9_8equal_toIvEEiEE10hipError_tPvRmT2_T3_T4_T5_mT6_T7_P12ihipStream_tbENKUlT_T0_E_clISt17integral_constantIbLb0EES14_IbLb1EEEEDaS10_S11_EUlS10_E_NS1_11comp_targetILNS1_3genE3ELNS1_11target_archE908ELNS1_3gpuE7ELNS1_3repE0EEENS1_30default_config_static_selectorELNS0_4arch9wavefront6targetE0EEEvT1_ ; -- Begin function _ZN7rocprim17ROCPRIM_400000_NS6detail17trampoline_kernelINS0_14default_configENS1_27scan_by_key_config_selectorImiEEZZNS1_16scan_by_key_implILNS1_25lookback_scan_determinismE0ELb0ES3_N6thrust23THRUST_200600_302600_NS18transform_iteratorI9row_indexNS9_17counting_iteratorImNS9_11use_defaultESD_SD_EESD_SD_EENS9_6detail15normal_iteratorINS9_10device_ptrIiEEEESK_iNS9_4plusIvEENS9_8equal_toIvEEiEE10hipError_tPvRmT2_T3_T4_T5_mT6_T7_P12ihipStream_tbENKUlT_T0_E_clISt17integral_constantIbLb0EES14_IbLb1EEEEDaS10_S11_EUlS10_E_NS1_11comp_targetILNS1_3genE3ELNS1_11target_archE908ELNS1_3gpuE7ELNS1_3repE0EEENS1_30default_config_static_selectorELNS0_4arch9wavefront6targetE0EEEvT1_
	.globl	_ZN7rocprim17ROCPRIM_400000_NS6detail17trampoline_kernelINS0_14default_configENS1_27scan_by_key_config_selectorImiEEZZNS1_16scan_by_key_implILNS1_25lookback_scan_determinismE0ELb0ES3_N6thrust23THRUST_200600_302600_NS18transform_iteratorI9row_indexNS9_17counting_iteratorImNS9_11use_defaultESD_SD_EESD_SD_EENS9_6detail15normal_iteratorINS9_10device_ptrIiEEEESK_iNS9_4plusIvEENS9_8equal_toIvEEiEE10hipError_tPvRmT2_T3_T4_T5_mT6_T7_P12ihipStream_tbENKUlT_T0_E_clISt17integral_constantIbLb0EES14_IbLb1EEEEDaS10_S11_EUlS10_E_NS1_11comp_targetILNS1_3genE3ELNS1_11target_archE908ELNS1_3gpuE7ELNS1_3repE0EEENS1_30default_config_static_selectorELNS0_4arch9wavefront6targetE0EEEvT1_
	.p2align	8
	.type	_ZN7rocprim17ROCPRIM_400000_NS6detail17trampoline_kernelINS0_14default_configENS1_27scan_by_key_config_selectorImiEEZZNS1_16scan_by_key_implILNS1_25lookback_scan_determinismE0ELb0ES3_N6thrust23THRUST_200600_302600_NS18transform_iteratorI9row_indexNS9_17counting_iteratorImNS9_11use_defaultESD_SD_EESD_SD_EENS9_6detail15normal_iteratorINS9_10device_ptrIiEEEESK_iNS9_4plusIvEENS9_8equal_toIvEEiEE10hipError_tPvRmT2_T3_T4_T5_mT6_T7_P12ihipStream_tbENKUlT_T0_E_clISt17integral_constantIbLb0EES14_IbLb1EEEEDaS10_S11_EUlS10_E_NS1_11comp_targetILNS1_3genE3ELNS1_11target_archE908ELNS1_3gpuE7ELNS1_3repE0EEENS1_30default_config_static_selectorELNS0_4arch9wavefront6targetE0EEEvT1_,@function
_ZN7rocprim17ROCPRIM_400000_NS6detail17trampoline_kernelINS0_14default_configENS1_27scan_by_key_config_selectorImiEEZZNS1_16scan_by_key_implILNS1_25lookback_scan_determinismE0ELb0ES3_N6thrust23THRUST_200600_302600_NS18transform_iteratorI9row_indexNS9_17counting_iteratorImNS9_11use_defaultESD_SD_EESD_SD_EENS9_6detail15normal_iteratorINS9_10device_ptrIiEEEESK_iNS9_4plusIvEENS9_8equal_toIvEEiEE10hipError_tPvRmT2_T3_T4_T5_mT6_T7_P12ihipStream_tbENKUlT_T0_E_clISt17integral_constantIbLb0EES14_IbLb1EEEEDaS10_S11_EUlS10_E_NS1_11comp_targetILNS1_3genE3ELNS1_11target_archE908ELNS1_3gpuE7ELNS1_3repE0EEENS1_30default_config_static_selectorELNS0_4arch9wavefront6targetE0EEEvT1_: ; @_ZN7rocprim17ROCPRIM_400000_NS6detail17trampoline_kernelINS0_14default_configENS1_27scan_by_key_config_selectorImiEEZZNS1_16scan_by_key_implILNS1_25lookback_scan_determinismE0ELb0ES3_N6thrust23THRUST_200600_302600_NS18transform_iteratorI9row_indexNS9_17counting_iteratorImNS9_11use_defaultESD_SD_EESD_SD_EENS9_6detail15normal_iteratorINS9_10device_ptrIiEEEESK_iNS9_4plusIvEENS9_8equal_toIvEEiEE10hipError_tPvRmT2_T3_T4_T5_mT6_T7_P12ihipStream_tbENKUlT_T0_E_clISt17integral_constantIbLb0EES14_IbLb1EEEEDaS10_S11_EUlS10_E_NS1_11comp_targetILNS1_3genE3ELNS1_11target_archE908ELNS1_3gpuE7ELNS1_3repE0EEENS1_30default_config_static_selectorELNS0_4arch9wavefront6targetE0EEEvT1_
; %bb.0:
	.section	.rodata,"a",@progbits
	.p2align	6, 0x0
	.amdhsa_kernel _ZN7rocprim17ROCPRIM_400000_NS6detail17trampoline_kernelINS0_14default_configENS1_27scan_by_key_config_selectorImiEEZZNS1_16scan_by_key_implILNS1_25lookback_scan_determinismE0ELb0ES3_N6thrust23THRUST_200600_302600_NS18transform_iteratorI9row_indexNS9_17counting_iteratorImNS9_11use_defaultESD_SD_EESD_SD_EENS9_6detail15normal_iteratorINS9_10device_ptrIiEEEESK_iNS9_4plusIvEENS9_8equal_toIvEEiEE10hipError_tPvRmT2_T3_T4_T5_mT6_T7_P12ihipStream_tbENKUlT_T0_E_clISt17integral_constantIbLb0EES14_IbLb1EEEEDaS10_S11_EUlS10_E_NS1_11comp_targetILNS1_3genE3ELNS1_11target_archE908ELNS1_3gpuE7ELNS1_3repE0EEENS1_30default_config_static_selectorELNS0_4arch9wavefront6targetE0EEEvT1_
		.amdhsa_group_segment_fixed_size 0
		.amdhsa_private_segment_fixed_size 0
		.amdhsa_kernarg_size 120
		.amdhsa_user_sgpr_count 6
		.amdhsa_user_sgpr_private_segment_buffer 1
		.amdhsa_user_sgpr_dispatch_ptr 0
		.amdhsa_user_sgpr_queue_ptr 0
		.amdhsa_user_sgpr_kernarg_segment_ptr 1
		.amdhsa_user_sgpr_dispatch_id 0
		.amdhsa_user_sgpr_flat_scratch_init 0
		.amdhsa_user_sgpr_private_segment_size 0
		.amdhsa_wavefront_size32 1
		.amdhsa_uses_dynamic_stack 0
		.amdhsa_system_sgpr_private_segment_wavefront_offset 0
		.amdhsa_system_sgpr_workgroup_id_x 1
		.amdhsa_system_sgpr_workgroup_id_y 0
		.amdhsa_system_sgpr_workgroup_id_z 0
		.amdhsa_system_sgpr_workgroup_info 0
		.amdhsa_system_vgpr_workitem_id 0
		.amdhsa_next_free_vgpr 1
		.amdhsa_next_free_sgpr 1
		.amdhsa_reserve_vcc 0
		.amdhsa_reserve_flat_scratch 0
		.amdhsa_float_round_mode_32 0
		.amdhsa_float_round_mode_16_64 0
		.amdhsa_float_denorm_mode_32 3
		.amdhsa_float_denorm_mode_16_64 3
		.amdhsa_dx10_clamp 1
		.amdhsa_ieee_mode 1
		.amdhsa_fp16_overflow 0
		.amdhsa_workgroup_processor_mode 1
		.amdhsa_memory_ordered 1
		.amdhsa_forward_progress 1
		.amdhsa_shared_vgpr_count 0
		.amdhsa_exception_fp_ieee_invalid_op 0
		.amdhsa_exception_fp_denorm_src 0
		.amdhsa_exception_fp_ieee_div_zero 0
		.amdhsa_exception_fp_ieee_overflow 0
		.amdhsa_exception_fp_ieee_underflow 0
		.amdhsa_exception_fp_ieee_inexact 0
		.amdhsa_exception_int_div_zero 0
	.end_amdhsa_kernel
	.section	.text._ZN7rocprim17ROCPRIM_400000_NS6detail17trampoline_kernelINS0_14default_configENS1_27scan_by_key_config_selectorImiEEZZNS1_16scan_by_key_implILNS1_25lookback_scan_determinismE0ELb0ES3_N6thrust23THRUST_200600_302600_NS18transform_iteratorI9row_indexNS9_17counting_iteratorImNS9_11use_defaultESD_SD_EESD_SD_EENS9_6detail15normal_iteratorINS9_10device_ptrIiEEEESK_iNS9_4plusIvEENS9_8equal_toIvEEiEE10hipError_tPvRmT2_T3_T4_T5_mT6_T7_P12ihipStream_tbENKUlT_T0_E_clISt17integral_constantIbLb0EES14_IbLb1EEEEDaS10_S11_EUlS10_E_NS1_11comp_targetILNS1_3genE3ELNS1_11target_archE908ELNS1_3gpuE7ELNS1_3repE0EEENS1_30default_config_static_selectorELNS0_4arch9wavefront6targetE0EEEvT1_,"axG",@progbits,_ZN7rocprim17ROCPRIM_400000_NS6detail17trampoline_kernelINS0_14default_configENS1_27scan_by_key_config_selectorImiEEZZNS1_16scan_by_key_implILNS1_25lookback_scan_determinismE0ELb0ES3_N6thrust23THRUST_200600_302600_NS18transform_iteratorI9row_indexNS9_17counting_iteratorImNS9_11use_defaultESD_SD_EESD_SD_EENS9_6detail15normal_iteratorINS9_10device_ptrIiEEEESK_iNS9_4plusIvEENS9_8equal_toIvEEiEE10hipError_tPvRmT2_T3_T4_T5_mT6_T7_P12ihipStream_tbENKUlT_T0_E_clISt17integral_constantIbLb0EES14_IbLb1EEEEDaS10_S11_EUlS10_E_NS1_11comp_targetILNS1_3genE3ELNS1_11target_archE908ELNS1_3gpuE7ELNS1_3repE0EEENS1_30default_config_static_selectorELNS0_4arch9wavefront6targetE0EEEvT1_,comdat
.Lfunc_end40:
	.size	_ZN7rocprim17ROCPRIM_400000_NS6detail17trampoline_kernelINS0_14default_configENS1_27scan_by_key_config_selectorImiEEZZNS1_16scan_by_key_implILNS1_25lookback_scan_determinismE0ELb0ES3_N6thrust23THRUST_200600_302600_NS18transform_iteratorI9row_indexNS9_17counting_iteratorImNS9_11use_defaultESD_SD_EESD_SD_EENS9_6detail15normal_iteratorINS9_10device_ptrIiEEEESK_iNS9_4plusIvEENS9_8equal_toIvEEiEE10hipError_tPvRmT2_T3_T4_T5_mT6_T7_P12ihipStream_tbENKUlT_T0_E_clISt17integral_constantIbLb0EES14_IbLb1EEEEDaS10_S11_EUlS10_E_NS1_11comp_targetILNS1_3genE3ELNS1_11target_archE908ELNS1_3gpuE7ELNS1_3repE0EEENS1_30default_config_static_selectorELNS0_4arch9wavefront6targetE0EEEvT1_, .Lfunc_end40-_ZN7rocprim17ROCPRIM_400000_NS6detail17trampoline_kernelINS0_14default_configENS1_27scan_by_key_config_selectorImiEEZZNS1_16scan_by_key_implILNS1_25lookback_scan_determinismE0ELb0ES3_N6thrust23THRUST_200600_302600_NS18transform_iteratorI9row_indexNS9_17counting_iteratorImNS9_11use_defaultESD_SD_EESD_SD_EENS9_6detail15normal_iteratorINS9_10device_ptrIiEEEESK_iNS9_4plusIvEENS9_8equal_toIvEEiEE10hipError_tPvRmT2_T3_T4_T5_mT6_T7_P12ihipStream_tbENKUlT_T0_E_clISt17integral_constantIbLb0EES14_IbLb1EEEEDaS10_S11_EUlS10_E_NS1_11comp_targetILNS1_3genE3ELNS1_11target_archE908ELNS1_3gpuE7ELNS1_3repE0EEENS1_30default_config_static_selectorELNS0_4arch9wavefront6targetE0EEEvT1_
                                        ; -- End function
	.set _ZN7rocprim17ROCPRIM_400000_NS6detail17trampoline_kernelINS0_14default_configENS1_27scan_by_key_config_selectorImiEEZZNS1_16scan_by_key_implILNS1_25lookback_scan_determinismE0ELb0ES3_N6thrust23THRUST_200600_302600_NS18transform_iteratorI9row_indexNS9_17counting_iteratorImNS9_11use_defaultESD_SD_EESD_SD_EENS9_6detail15normal_iteratorINS9_10device_ptrIiEEEESK_iNS9_4plusIvEENS9_8equal_toIvEEiEE10hipError_tPvRmT2_T3_T4_T5_mT6_T7_P12ihipStream_tbENKUlT_T0_E_clISt17integral_constantIbLb0EES14_IbLb1EEEEDaS10_S11_EUlS10_E_NS1_11comp_targetILNS1_3genE3ELNS1_11target_archE908ELNS1_3gpuE7ELNS1_3repE0EEENS1_30default_config_static_selectorELNS0_4arch9wavefront6targetE0EEEvT1_.num_vgpr, 0
	.set _ZN7rocprim17ROCPRIM_400000_NS6detail17trampoline_kernelINS0_14default_configENS1_27scan_by_key_config_selectorImiEEZZNS1_16scan_by_key_implILNS1_25lookback_scan_determinismE0ELb0ES3_N6thrust23THRUST_200600_302600_NS18transform_iteratorI9row_indexNS9_17counting_iteratorImNS9_11use_defaultESD_SD_EESD_SD_EENS9_6detail15normal_iteratorINS9_10device_ptrIiEEEESK_iNS9_4plusIvEENS9_8equal_toIvEEiEE10hipError_tPvRmT2_T3_T4_T5_mT6_T7_P12ihipStream_tbENKUlT_T0_E_clISt17integral_constantIbLb0EES14_IbLb1EEEEDaS10_S11_EUlS10_E_NS1_11comp_targetILNS1_3genE3ELNS1_11target_archE908ELNS1_3gpuE7ELNS1_3repE0EEENS1_30default_config_static_selectorELNS0_4arch9wavefront6targetE0EEEvT1_.num_agpr, 0
	.set _ZN7rocprim17ROCPRIM_400000_NS6detail17trampoline_kernelINS0_14default_configENS1_27scan_by_key_config_selectorImiEEZZNS1_16scan_by_key_implILNS1_25lookback_scan_determinismE0ELb0ES3_N6thrust23THRUST_200600_302600_NS18transform_iteratorI9row_indexNS9_17counting_iteratorImNS9_11use_defaultESD_SD_EESD_SD_EENS9_6detail15normal_iteratorINS9_10device_ptrIiEEEESK_iNS9_4plusIvEENS9_8equal_toIvEEiEE10hipError_tPvRmT2_T3_T4_T5_mT6_T7_P12ihipStream_tbENKUlT_T0_E_clISt17integral_constantIbLb0EES14_IbLb1EEEEDaS10_S11_EUlS10_E_NS1_11comp_targetILNS1_3genE3ELNS1_11target_archE908ELNS1_3gpuE7ELNS1_3repE0EEENS1_30default_config_static_selectorELNS0_4arch9wavefront6targetE0EEEvT1_.numbered_sgpr, 0
	.set _ZN7rocprim17ROCPRIM_400000_NS6detail17trampoline_kernelINS0_14default_configENS1_27scan_by_key_config_selectorImiEEZZNS1_16scan_by_key_implILNS1_25lookback_scan_determinismE0ELb0ES3_N6thrust23THRUST_200600_302600_NS18transform_iteratorI9row_indexNS9_17counting_iteratorImNS9_11use_defaultESD_SD_EESD_SD_EENS9_6detail15normal_iteratorINS9_10device_ptrIiEEEESK_iNS9_4plusIvEENS9_8equal_toIvEEiEE10hipError_tPvRmT2_T3_T4_T5_mT6_T7_P12ihipStream_tbENKUlT_T0_E_clISt17integral_constantIbLb0EES14_IbLb1EEEEDaS10_S11_EUlS10_E_NS1_11comp_targetILNS1_3genE3ELNS1_11target_archE908ELNS1_3gpuE7ELNS1_3repE0EEENS1_30default_config_static_selectorELNS0_4arch9wavefront6targetE0EEEvT1_.num_named_barrier, 0
	.set _ZN7rocprim17ROCPRIM_400000_NS6detail17trampoline_kernelINS0_14default_configENS1_27scan_by_key_config_selectorImiEEZZNS1_16scan_by_key_implILNS1_25lookback_scan_determinismE0ELb0ES3_N6thrust23THRUST_200600_302600_NS18transform_iteratorI9row_indexNS9_17counting_iteratorImNS9_11use_defaultESD_SD_EESD_SD_EENS9_6detail15normal_iteratorINS9_10device_ptrIiEEEESK_iNS9_4plusIvEENS9_8equal_toIvEEiEE10hipError_tPvRmT2_T3_T4_T5_mT6_T7_P12ihipStream_tbENKUlT_T0_E_clISt17integral_constantIbLb0EES14_IbLb1EEEEDaS10_S11_EUlS10_E_NS1_11comp_targetILNS1_3genE3ELNS1_11target_archE908ELNS1_3gpuE7ELNS1_3repE0EEENS1_30default_config_static_selectorELNS0_4arch9wavefront6targetE0EEEvT1_.private_seg_size, 0
	.set _ZN7rocprim17ROCPRIM_400000_NS6detail17trampoline_kernelINS0_14default_configENS1_27scan_by_key_config_selectorImiEEZZNS1_16scan_by_key_implILNS1_25lookback_scan_determinismE0ELb0ES3_N6thrust23THRUST_200600_302600_NS18transform_iteratorI9row_indexNS9_17counting_iteratorImNS9_11use_defaultESD_SD_EESD_SD_EENS9_6detail15normal_iteratorINS9_10device_ptrIiEEEESK_iNS9_4plusIvEENS9_8equal_toIvEEiEE10hipError_tPvRmT2_T3_T4_T5_mT6_T7_P12ihipStream_tbENKUlT_T0_E_clISt17integral_constantIbLb0EES14_IbLb1EEEEDaS10_S11_EUlS10_E_NS1_11comp_targetILNS1_3genE3ELNS1_11target_archE908ELNS1_3gpuE7ELNS1_3repE0EEENS1_30default_config_static_selectorELNS0_4arch9wavefront6targetE0EEEvT1_.uses_vcc, 0
	.set _ZN7rocprim17ROCPRIM_400000_NS6detail17trampoline_kernelINS0_14default_configENS1_27scan_by_key_config_selectorImiEEZZNS1_16scan_by_key_implILNS1_25lookback_scan_determinismE0ELb0ES3_N6thrust23THRUST_200600_302600_NS18transform_iteratorI9row_indexNS9_17counting_iteratorImNS9_11use_defaultESD_SD_EESD_SD_EENS9_6detail15normal_iteratorINS9_10device_ptrIiEEEESK_iNS9_4plusIvEENS9_8equal_toIvEEiEE10hipError_tPvRmT2_T3_T4_T5_mT6_T7_P12ihipStream_tbENKUlT_T0_E_clISt17integral_constantIbLb0EES14_IbLb1EEEEDaS10_S11_EUlS10_E_NS1_11comp_targetILNS1_3genE3ELNS1_11target_archE908ELNS1_3gpuE7ELNS1_3repE0EEENS1_30default_config_static_selectorELNS0_4arch9wavefront6targetE0EEEvT1_.uses_flat_scratch, 0
	.set _ZN7rocprim17ROCPRIM_400000_NS6detail17trampoline_kernelINS0_14default_configENS1_27scan_by_key_config_selectorImiEEZZNS1_16scan_by_key_implILNS1_25lookback_scan_determinismE0ELb0ES3_N6thrust23THRUST_200600_302600_NS18transform_iteratorI9row_indexNS9_17counting_iteratorImNS9_11use_defaultESD_SD_EESD_SD_EENS9_6detail15normal_iteratorINS9_10device_ptrIiEEEESK_iNS9_4plusIvEENS9_8equal_toIvEEiEE10hipError_tPvRmT2_T3_T4_T5_mT6_T7_P12ihipStream_tbENKUlT_T0_E_clISt17integral_constantIbLb0EES14_IbLb1EEEEDaS10_S11_EUlS10_E_NS1_11comp_targetILNS1_3genE3ELNS1_11target_archE908ELNS1_3gpuE7ELNS1_3repE0EEENS1_30default_config_static_selectorELNS0_4arch9wavefront6targetE0EEEvT1_.has_dyn_sized_stack, 0
	.set _ZN7rocprim17ROCPRIM_400000_NS6detail17trampoline_kernelINS0_14default_configENS1_27scan_by_key_config_selectorImiEEZZNS1_16scan_by_key_implILNS1_25lookback_scan_determinismE0ELb0ES3_N6thrust23THRUST_200600_302600_NS18transform_iteratorI9row_indexNS9_17counting_iteratorImNS9_11use_defaultESD_SD_EESD_SD_EENS9_6detail15normal_iteratorINS9_10device_ptrIiEEEESK_iNS9_4plusIvEENS9_8equal_toIvEEiEE10hipError_tPvRmT2_T3_T4_T5_mT6_T7_P12ihipStream_tbENKUlT_T0_E_clISt17integral_constantIbLb0EES14_IbLb1EEEEDaS10_S11_EUlS10_E_NS1_11comp_targetILNS1_3genE3ELNS1_11target_archE908ELNS1_3gpuE7ELNS1_3repE0EEENS1_30default_config_static_selectorELNS0_4arch9wavefront6targetE0EEEvT1_.has_recursion, 0
	.set _ZN7rocprim17ROCPRIM_400000_NS6detail17trampoline_kernelINS0_14default_configENS1_27scan_by_key_config_selectorImiEEZZNS1_16scan_by_key_implILNS1_25lookback_scan_determinismE0ELb0ES3_N6thrust23THRUST_200600_302600_NS18transform_iteratorI9row_indexNS9_17counting_iteratorImNS9_11use_defaultESD_SD_EESD_SD_EENS9_6detail15normal_iteratorINS9_10device_ptrIiEEEESK_iNS9_4plusIvEENS9_8equal_toIvEEiEE10hipError_tPvRmT2_T3_T4_T5_mT6_T7_P12ihipStream_tbENKUlT_T0_E_clISt17integral_constantIbLb0EES14_IbLb1EEEEDaS10_S11_EUlS10_E_NS1_11comp_targetILNS1_3genE3ELNS1_11target_archE908ELNS1_3gpuE7ELNS1_3repE0EEENS1_30default_config_static_selectorELNS0_4arch9wavefront6targetE0EEEvT1_.has_indirect_call, 0
	.section	.AMDGPU.csdata,"",@progbits
; Kernel info:
; codeLenInByte = 0
; TotalNumSgprs: 0
; NumVgprs: 0
; ScratchSize: 0
; MemoryBound: 0
; FloatMode: 240
; IeeeMode: 1
; LDSByteSize: 0 bytes/workgroup (compile time only)
; SGPRBlocks: 0
; VGPRBlocks: 0
; NumSGPRsForWavesPerEU: 1
; NumVGPRsForWavesPerEU: 1
; Occupancy: 16
; WaveLimiterHint : 0
; COMPUTE_PGM_RSRC2:SCRATCH_EN: 0
; COMPUTE_PGM_RSRC2:USER_SGPR: 6
; COMPUTE_PGM_RSRC2:TRAP_HANDLER: 0
; COMPUTE_PGM_RSRC2:TGID_X_EN: 1
; COMPUTE_PGM_RSRC2:TGID_Y_EN: 0
; COMPUTE_PGM_RSRC2:TGID_Z_EN: 0
; COMPUTE_PGM_RSRC2:TIDIG_COMP_CNT: 0
	.section	.text._ZN7rocprim17ROCPRIM_400000_NS6detail17trampoline_kernelINS0_14default_configENS1_27scan_by_key_config_selectorImiEEZZNS1_16scan_by_key_implILNS1_25lookback_scan_determinismE0ELb0ES3_N6thrust23THRUST_200600_302600_NS18transform_iteratorI9row_indexNS9_17counting_iteratorImNS9_11use_defaultESD_SD_EESD_SD_EENS9_6detail15normal_iteratorINS9_10device_ptrIiEEEESK_iNS9_4plusIvEENS9_8equal_toIvEEiEE10hipError_tPvRmT2_T3_T4_T5_mT6_T7_P12ihipStream_tbENKUlT_T0_E_clISt17integral_constantIbLb0EES14_IbLb1EEEEDaS10_S11_EUlS10_E_NS1_11comp_targetILNS1_3genE2ELNS1_11target_archE906ELNS1_3gpuE6ELNS1_3repE0EEENS1_30default_config_static_selectorELNS0_4arch9wavefront6targetE0EEEvT1_,"axG",@progbits,_ZN7rocprim17ROCPRIM_400000_NS6detail17trampoline_kernelINS0_14default_configENS1_27scan_by_key_config_selectorImiEEZZNS1_16scan_by_key_implILNS1_25lookback_scan_determinismE0ELb0ES3_N6thrust23THRUST_200600_302600_NS18transform_iteratorI9row_indexNS9_17counting_iteratorImNS9_11use_defaultESD_SD_EESD_SD_EENS9_6detail15normal_iteratorINS9_10device_ptrIiEEEESK_iNS9_4plusIvEENS9_8equal_toIvEEiEE10hipError_tPvRmT2_T3_T4_T5_mT6_T7_P12ihipStream_tbENKUlT_T0_E_clISt17integral_constantIbLb0EES14_IbLb1EEEEDaS10_S11_EUlS10_E_NS1_11comp_targetILNS1_3genE2ELNS1_11target_archE906ELNS1_3gpuE6ELNS1_3repE0EEENS1_30default_config_static_selectorELNS0_4arch9wavefront6targetE0EEEvT1_,comdat
	.protected	_ZN7rocprim17ROCPRIM_400000_NS6detail17trampoline_kernelINS0_14default_configENS1_27scan_by_key_config_selectorImiEEZZNS1_16scan_by_key_implILNS1_25lookback_scan_determinismE0ELb0ES3_N6thrust23THRUST_200600_302600_NS18transform_iteratorI9row_indexNS9_17counting_iteratorImNS9_11use_defaultESD_SD_EESD_SD_EENS9_6detail15normal_iteratorINS9_10device_ptrIiEEEESK_iNS9_4plusIvEENS9_8equal_toIvEEiEE10hipError_tPvRmT2_T3_T4_T5_mT6_T7_P12ihipStream_tbENKUlT_T0_E_clISt17integral_constantIbLb0EES14_IbLb1EEEEDaS10_S11_EUlS10_E_NS1_11comp_targetILNS1_3genE2ELNS1_11target_archE906ELNS1_3gpuE6ELNS1_3repE0EEENS1_30default_config_static_selectorELNS0_4arch9wavefront6targetE0EEEvT1_ ; -- Begin function _ZN7rocprim17ROCPRIM_400000_NS6detail17trampoline_kernelINS0_14default_configENS1_27scan_by_key_config_selectorImiEEZZNS1_16scan_by_key_implILNS1_25lookback_scan_determinismE0ELb0ES3_N6thrust23THRUST_200600_302600_NS18transform_iteratorI9row_indexNS9_17counting_iteratorImNS9_11use_defaultESD_SD_EESD_SD_EENS9_6detail15normal_iteratorINS9_10device_ptrIiEEEESK_iNS9_4plusIvEENS9_8equal_toIvEEiEE10hipError_tPvRmT2_T3_T4_T5_mT6_T7_P12ihipStream_tbENKUlT_T0_E_clISt17integral_constantIbLb0EES14_IbLb1EEEEDaS10_S11_EUlS10_E_NS1_11comp_targetILNS1_3genE2ELNS1_11target_archE906ELNS1_3gpuE6ELNS1_3repE0EEENS1_30default_config_static_selectorELNS0_4arch9wavefront6targetE0EEEvT1_
	.globl	_ZN7rocprim17ROCPRIM_400000_NS6detail17trampoline_kernelINS0_14default_configENS1_27scan_by_key_config_selectorImiEEZZNS1_16scan_by_key_implILNS1_25lookback_scan_determinismE0ELb0ES3_N6thrust23THRUST_200600_302600_NS18transform_iteratorI9row_indexNS9_17counting_iteratorImNS9_11use_defaultESD_SD_EESD_SD_EENS9_6detail15normal_iteratorINS9_10device_ptrIiEEEESK_iNS9_4plusIvEENS9_8equal_toIvEEiEE10hipError_tPvRmT2_T3_T4_T5_mT6_T7_P12ihipStream_tbENKUlT_T0_E_clISt17integral_constantIbLb0EES14_IbLb1EEEEDaS10_S11_EUlS10_E_NS1_11comp_targetILNS1_3genE2ELNS1_11target_archE906ELNS1_3gpuE6ELNS1_3repE0EEENS1_30default_config_static_selectorELNS0_4arch9wavefront6targetE0EEEvT1_
	.p2align	8
	.type	_ZN7rocprim17ROCPRIM_400000_NS6detail17trampoline_kernelINS0_14default_configENS1_27scan_by_key_config_selectorImiEEZZNS1_16scan_by_key_implILNS1_25lookback_scan_determinismE0ELb0ES3_N6thrust23THRUST_200600_302600_NS18transform_iteratorI9row_indexNS9_17counting_iteratorImNS9_11use_defaultESD_SD_EESD_SD_EENS9_6detail15normal_iteratorINS9_10device_ptrIiEEEESK_iNS9_4plusIvEENS9_8equal_toIvEEiEE10hipError_tPvRmT2_T3_T4_T5_mT6_T7_P12ihipStream_tbENKUlT_T0_E_clISt17integral_constantIbLb0EES14_IbLb1EEEEDaS10_S11_EUlS10_E_NS1_11comp_targetILNS1_3genE2ELNS1_11target_archE906ELNS1_3gpuE6ELNS1_3repE0EEENS1_30default_config_static_selectorELNS0_4arch9wavefront6targetE0EEEvT1_,@function
_ZN7rocprim17ROCPRIM_400000_NS6detail17trampoline_kernelINS0_14default_configENS1_27scan_by_key_config_selectorImiEEZZNS1_16scan_by_key_implILNS1_25lookback_scan_determinismE0ELb0ES3_N6thrust23THRUST_200600_302600_NS18transform_iteratorI9row_indexNS9_17counting_iteratorImNS9_11use_defaultESD_SD_EESD_SD_EENS9_6detail15normal_iteratorINS9_10device_ptrIiEEEESK_iNS9_4plusIvEENS9_8equal_toIvEEiEE10hipError_tPvRmT2_T3_T4_T5_mT6_T7_P12ihipStream_tbENKUlT_T0_E_clISt17integral_constantIbLb0EES14_IbLb1EEEEDaS10_S11_EUlS10_E_NS1_11comp_targetILNS1_3genE2ELNS1_11target_archE906ELNS1_3gpuE6ELNS1_3repE0EEENS1_30default_config_static_selectorELNS0_4arch9wavefront6targetE0EEEvT1_: ; @_ZN7rocprim17ROCPRIM_400000_NS6detail17trampoline_kernelINS0_14default_configENS1_27scan_by_key_config_selectorImiEEZZNS1_16scan_by_key_implILNS1_25lookback_scan_determinismE0ELb0ES3_N6thrust23THRUST_200600_302600_NS18transform_iteratorI9row_indexNS9_17counting_iteratorImNS9_11use_defaultESD_SD_EESD_SD_EENS9_6detail15normal_iteratorINS9_10device_ptrIiEEEESK_iNS9_4plusIvEENS9_8equal_toIvEEiEE10hipError_tPvRmT2_T3_T4_T5_mT6_T7_P12ihipStream_tbENKUlT_T0_E_clISt17integral_constantIbLb0EES14_IbLb1EEEEDaS10_S11_EUlS10_E_NS1_11comp_targetILNS1_3genE2ELNS1_11target_archE906ELNS1_3gpuE6ELNS1_3repE0EEENS1_30default_config_static_selectorELNS0_4arch9wavefront6targetE0EEEvT1_
; %bb.0:
	.section	.rodata,"a",@progbits
	.p2align	6, 0x0
	.amdhsa_kernel _ZN7rocprim17ROCPRIM_400000_NS6detail17trampoline_kernelINS0_14default_configENS1_27scan_by_key_config_selectorImiEEZZNS1_16scan_by_key_implILNS1_25lookback_scan_determinismE0ELb0ES3_N6thrust23THRUST_200600_302600_NS18transform_iteratorI9row_indexNS9_17counting_iteratorImNS9_11use_defaultESD_SD_EESD_SD_EENS9_6detail15normal_iteratorINS9_10device_ptrIiEEEESK_iNS9_4plusIvEENS9_8equal_toIvEEiEE10hipError_tPvRmT2_T3_T4_T5_mT6_T7_P12ihipStream_tbENKUlT_T0_E_clISt17integral_constantIbLb0EES14_IbLb1EEEEDaS10_S11_EUlS10_E_NS1_11comp_targetILNS1_3genE2ELNS1_11target_archE906ELNS1_3gpuE6ELNS1_3repE0EEENS1_30default_config_static_selectorELNS0_4arch9wavefront6targetE0EEEvT1_
		.amdhsa_group_segment_fixed_size 0
		.amdhsa_private_segment_fixed_size 0
		.amdhsa_kernarg_size 120
		.amdhsa_user_sgpr_count 6
		.amdhsa_user_sgpr_private_segment_buffer 1
		.amdhsa_user_sgpr_dispatch_ptr 0
		.amdhsa_user_sgpr_queue_ptr 0
		.amdhsa_user_sgpr_kernarg_segment_ptr 1
		.amdhsa_user_sgpr_dispatch_id 0
		.amdhsa_user_sgpr_flat_scratch_init 0
		.amdhsa_user_sgpr_private_segment_size 0
		.amdhsa_wavefront_size32 1
		.amdhsa_uses_dynamic_stack 0
		.amdhsa_system_sgpr_private_segment_wavefront_offset 0
		.amdhsa_system_sgpr_workgroup_id_x 1
		.amdhsa_system_sgpr_workgroup_id_y 0
		.amdhsa_system_sgpr_workgroup_id_z 0
		.amdhsa_system_sgpr_workgroup_info 0
		.amdhsa_system_vgpr_workitem_id 0
		.amdhsa_next_free_vgpr 1
		.amdhsa_next_free_sgpr 1
		.amdhsa_reserve_vcc 0
		.amdhsa_reserve_flat_scratch 0
		.amdhsa_float_round_mode_32 0
		.amdhsa_float_round_mode_16_64 0
		.amdhsa_float_denorm_mode_32 3
		.amdhsa_float_denorm_mode_16_64 3
		.amdhsa_dx10_clamp 1
		.amdhsa_ieee_mode 1
		.amdhsa_fp16_overflow 0
		.amdhsa_workgroup_processor_mode 1
		.amdhsa_memory_ordered 1
		.amdhsa_forward_progress 1
		.amdhsa_shared_vgpr_count 0
		.amdhsa_exception_fp_ieee_invalid_op 0
		.amdhsa_exception_fp_denorm_src 0
		.amdhsa_exception_fp_ieee_div_zero 0
		.amdhsa_exception_fp_ieee_overflow 0
		.amdhsa_exception_fp_ieee_underflow 0
		.amdhsa_exception_fp_ieee_inexact 0
		.amdhsa_exception_int_div_zero 0
	.end_amdhsa_kernel
	.section	.text._ZN7rocprim17ROCPRIM_400000_NS6detail17trampoline_kernelINS0_14default_configENS1_27scan_by_key_config_selectorImiEEZZNS1_16scan_by_key_implILNS1_25lookback_scan_determinismE0ELb0ES3_N6thrust23THRUST_200600_302600_NS18transform_iteratorI9row_indexNS9_17counting_iteratorImNS9_11use_defaultESD_SD_EESD_SD_EENS9_6detail15normal_iteratorINS9_10device_ptrIiEEEESK_iNS9_4plusIvEENS9_8equal_toIvEEiEE10hipError_tPvRmT2_T3_T4_T5_mT6_T7_P12ihipStream_tbENKUlT_T0_E_clISt17integral_constantIbLb0EES14_IbLb1EEEEDaS10_S11_EUlS10_E_NS1_11comp_targetILNS1_3genE2ELNS1_11target_archE906ELNS1_3gpuE6ELNS1_3repE0EEENS1_30default_config_static_selectorELNS0_4arch9wavefront6targetE0EEEvT1_,"axG",@progbits,_ZN7rocprim17ROCPRIM_400000_NS6detail17trampoline_kernelINS0_14default_configENS1_27scan_by_key_config_selectorImiEEZZNS1_16scan_by_key_implILNS1_25lookback_scan_determinismE0ELb0ES3_N6thrust23THRUST_200600_302600_NS18transform_iteratorI9row_indexNS9_17counting_iteratorImNS9_11use_defaultESD_SD_EESD_SD_EENS9_6detail15normal_iteratorINS9_10device_ptrIiEEEESK_iNS9_4plusIvEENS9_8equal_toIvEEiEE10hipError_tPvRmT2_T3_T4_T5_mT6_T7_P12ihipStream_tbENKUlT_T0_E_clISt17integral_constantIbLb0EES14_IbLb1EEEEDaS10_S11_EUlS10_E_NS1_11comp_targetILNS1_3genE2ELNS1_11target_archE906ELNS1_3gpuE6ELNS1_3repE0EEENS1_30default_config_static_selectorELNS0_4arch9wavefront6targetE0EEEvT1_,comdat
.Lfunc_end41:
	.size	_ZN7rocprim17ROCPRIM_400000_NS6detail17trampoline_kernelINS0_14default_configENS1_27scan_by_key_config_selectorImiEEZZNS1_16scan_by_key_implILNS1_25lookback_scan_determinismE0ELb0ES3_N6thrust23THRUST_200600_302600_NS18transform_iteratorI9row_indexNS9_17counting_iteratorImNS9_11use_defaultESD_SD_EESD_SD_EENS9_6detail15normal_iteratorINS9_10device_ptrIiEEEESK_iNS9_4plusIvEENS9_8equal_toIvEEiEE10hipError_tPvRmT2_T3_T4_T5_mT6_T7_P12ihipStream_tbENKUlT_T0_E_clISt17integral_constantIbLb0EES14_IbLb1EEEEDaS10_S11_EUlS10_E_NS1_11comp_targetILNS1_3genE2ELNS1_11target_archE906ELNS1_3gpuE6ELNS1_3repE0EEENS1_30default_config_static_selectorELNS0_4arch9wavefront6targetE0EEEvT1_, .Lfunc_end41-_ZN7rocprim17ROCPRIM_400000_NS6detail17trampoline_kernelINS0_14default_configENS1_27scan_by_key_config_selectorImiEEZZNS1_16scan_by_key_implILNS1_25lookback_scan_determinismE0ELb0ES3_N6thrust23THRUST_200600_302600_NS18transform_iteratorI9row_indexNS9_17counting_iteratorImNS9_11use_defaultESD_SD_EESD_SD_EENS9_6detail15normal_iteratorINS9_10device_ptrIiEEEESK_iNS9_4plusIvEENS9_8equal_toIvEEiEE10hipError_tPvRmT2_T3_T4_T5_mT6_T7_P12ihipStream_tbENKUlT_T0_E_clISt17integral_constantIbLb0EES14_IbLb1EEEEDaS10_S11_EUlS10_E_NS1_11comp_targetILNS1_3genE2ELNS1_11target_archE906ELNS1_3gpuE6ELNS1_3repE0EEENS1_30default_config_static_selectorELNS0_4arch9wavefront6targetE0EEEvT1_
                                        ; -- End function
	.set _ZN7rocprim17ROCPRIM_400000_NS6detail17trampoline_kernelINS0_14default_configENS1_27scan_by_key_config_selectorImiEEZZNS1_16scan_by_key_implILNS1_25lookback_scan_determinismE0ELb0ES3_N6thrust23THRUST_200600_302600_NS18transform_iteratorI9row_indexNS9_17counting_iteratorImNS9_11use_defaultESD_SD_EESD_SD_EENS9_6detail15normal_iteratorINS9_10device_ptrIiEEEESK_iNS9_4plusIvEENS9_8equal_toIvEEiEE10hipError_tPvRmT2_T3_T4_T5_mT6_T7_P12ihipStream_tbENKUlT_T0_E_clISt17integral_constantIbLb0EES14_IbLb1EEEEDaS10_S11_EUlS10_E_NS1_11comp_targetILNS1_3genE2ELNS1_11target_archE906ELNS1_3gpuE6ELNS1_3repE0EEENS1_30default_config_static_selectorELNS0_4arch9wavefront6targetE0EEEvT1_.num_vgpr, 0
	.set _ZN7rocprim17ROCPRIM_400000_NS6detail17trampoline_kernelINS0_14default_configENS1_27scan_by_key_config_selectorImiEEZZNS1_16scan_by_key_implILNS1_25lookback_scan_determinismE0ELb0ES3_N6thrust23THRUST_200600_302600_NS18transform_iteratorI9row_indexNS9_17counting_iteratorImNS9_11use_defaultESD_SD_EESD_SD_EENS9_6detail15normal_iteratorINS9_10device_ptrIiEEEESK_iNS9_4plusIvEENS9_8equal_toIvEEiEE10hipError_tPvRmT2_T3_T4_T5_mT6_T7_P12ihipStream_tbENKUlT_T0_E_clISt17integral_constantIbLb0EES14_IbLb1EEEEDaS10_S11_EUlS10_E_NS1_11comp_targetILNS1_3genE2ELNS1_11target_archE906ELNS1_3gpuE6ELNS1_3repE0EEENS1_30default_config_static_selectorELNS0_4arch9wavefront6targetE0EEEvT1_.num_agpr, 0
	.set _ZN7rocprim17ROCPRIM_400000_NS6detail17trampoline_kernelINS0_14default_configENS1_27scan_by_key_config_selectorImiEEZZNS1_16scan_by_key_implILNS1_25lookback_scan_determinismE0ELb0ES3_N6thrust23THRUST_200600_302600_NS18transform_iteratorI9row_indexNS9_17counting_iteratorImNS9_11use_defaultESD_SD_EESD_SD_EENS9_6detail15normal_iteratorINS9_10device_ptrIiEEEESK_iNS9_4plusIvEENS9_8equal_toIvEEiEE10hipError_tPvRmT2_T3_T4_T5_mT6_T7_P12ihipStream_tbENKUlT_T0_E_clISt17integral_constantIbLb0EES14_IbLb1EEEEDaS10_S11_EUlS10_E_NS1_11comp_targetILNS1_3genE2ELNS1_11target_archE906ELNS1_3gpuE6ELNS1_3repE0EEENS1_30default_config_static_selectorELNS0_4arch9wavefront6targetE0EEEvT1_.numbered_sgpr, 0
	.set _ZN7rocprim17ROCPRIM_400000_NS6detail17trampoline_kernelINS0_14default_configENS1_27scan_by_key_config_selectorImiEEZZNS1_16scan_by_key_implILNS1_25lookback_scan_determinismE0ELb0ES3_N6thrust23THRUST_200600_302600_NS18transform_iteratorI9row_indexNS9_17counting_iteratorImNS9_11use_defaultESD_SD_EESD_SD_EENS9_6detail15normal_iteratorINS9_10device_ptrIiEEEESK_iNS9_4plusIvEENS9_8equal_toIvEEiEE10hipError_tPvRmT2_T3_T4_T5_mT6_T7_P12ihipStream_tbENKUlT_T0_E_clISt17integral_constantIbLb0EES14_IbLb1EEEEDaS10_S11_EUlS10_E_NS1_11comp_targetILNS1_3genE2ELNS1_11target_archE906ELNS1_3gpuE6ELNS1_3repE0EEENS1_30default_config_static_selectorELNS0_4arch9wavefront6targetE0EEEvT1_.num_named_barrier, 0
	.set _ZN7rocprim17ROCPRIM_400000_NS6detail17trampoline_kernelINS0_14default_configENS1_27scan_by_key_config_selectorImiEEZZNS1_16scan_by_key_implILNS1_25lookback_scan_determinismE0ELb0ES3_N6thrust23THRUST_200600_302600_NS18transform_iteratorI9row_indexNS9_17counting_iteratorImNS9_11use_defaultESD_SD_EESD_SD_EENS9_6detail15normal_iteratorINS9_10device_ptrIiEEEESK_iNS9_4plusIvEENS9_8equal_toIvEEiEE10hipError_tPvRmT2_T3_T4_T5_mT6_T7_P12ihipStream_tbENKUlT_T0_E_clISt17integral_constantIbLb0EES14_IbLb1EEEEDaS10_S11_EUlS10_E_NS1_11comp_targetILNS1_3genE2ELNS1_11target_archE906ELNS1_3gpuE6ELNS1_3repE0EEENS1_30default_config_static_selectorELNS0_4arch9wavefront6targetE0EEEvT1_.private_seg_size, 0
	.set _ZN7rocprim17ROCPRIM_400000_NS6detail17trampoline_kernelINS0_14default_configENS1_27scan_by_key_config_selectorImiEEZZNS1_16scan_by_key_implILNS1_25lookback_scan_determinismE0ELb0ES3_N6thrust23THRUST_200600_302600_NS18transform_iteratorI9row_indexNS9_17counting_iteratorImNS9_11use_defaultESD_SD_EESD_SD_EENS9_6detail15normal_iteratorINS9_10device_ptrIiEEEESK_iNS9_4plusIvEENS9_8equal_toIvEEiEE10hipError_tPvRmT2_T3_T4_T5_mT6_T7_P12ihipStream_tbENKUlT_T0_E_clISt17integral_constantIbLb0EES14_IbLb1EEEEDaS10_S11_EUlS10_E_NS1_11comp_targetILNS1_3genE2ELNS1_11target_archE906ELNS1_3gpuE6ELNS1_3repE0EEENS1_30default_config_static_selectorELNS0_4arch9wavefront6targetE0EEEvT1_.uses_vcc, 0
	.set _ZN7rocprim17ROCPRIM_400000_NS6detail17trampoline_kernelINS0_14default_configENS1_27scan_by_key_config_selectorImiEEZZNS1_16scan_by_key_implILNS1_25lookback_scan_determinismE0ELb0ES3_N6thrust23THRUST_200600_302600_NS18transform_iteratorI9row_indexNS9_17counting_iteratorImNS9_11use_defaultESD_SD_EESD_SD_EENS9_6detail15normal_iteratorINS9_10device_ptrIiEEEESK_iNS9_4plusIvEENS9_8equal_toIvEEiEE10hipError_tPvRmT2_T3_T4_T5_mT6_T7_P12ihipStream_tbENKUlT_T0_E_clISt17integral_constantIbLb0EES14_IbLb1EEEEDaS10_S11_EUlS10_E_NS1_11comp_targetILNS1_3genE2ELNS1_11target_archE906ELNS1_3gpuE6ELNS1_3repE0EEENS1_30default_config_static_selectorELNS0_4arch9wavefront6targetE0EEEvT1_.uses_flat_scratch, 0
	.set _ZN7rocprim17ROCPRIM_400000_NS6detail17trampoline_kernelINS0_14default_configENS1_27scan_by_key_config_selectorImiEEZZNS1_16scan_by_key_implILNS1_25lookback_scan_determinismE0ELb0ES3_N6thrust23THRUST_200600_302600_NS18transform_iteratorI9row_indexNS9_17counting_iteratorImNS9_11use_defaultESD_SD_EESD_SD_EENS9_6detail15normal_iteratorINS9_10device_ptrIiEEEESK_iNS9_4plusIvEENS9_8equal_toIvEEiEE10hipError_tPvRmT2_T3_T4_T5_mT6_T7_P12ihipStream_tbENKUlT_T0_E_clISt17integral_constantIbLb0EES14_IbLb1EEEEDaS10_S11_EUlS10_E_NS1_11comp_targetILNS1_3genE2ELNS1_11target_archE906ELNS1_3gpuE6ELNS1_3repE0EEENS1_30default_config_static_selectorELNS0_4arch9wavefront6targetE0EEEvT1_.has_dyn_sized_stack, 0
	.set _ZN7rocprim17ROCPRIM_400000_NS6detail17trampoline_kernelINS0_14default_configENS1_27scan_by_key_config_selectorImiEEZZNS1_16scan_by_key_implILNS1_25lookback_scan_determinismE0ELb0ES3_N6thrust23THRUST_200600_302600_NS18transform_iteratorI9row_indexNS9_17counting_iteratorImNS9_11use_defaultESD_SD_EESD_SD_EENS9_6detail15normal_iteratorINS9_10device_ptrIiEEEESK_iNS9_4plusIvEENS9_8equal_toIvEEiEE10hipError_tPvRmT2_T3_T4_T5_mT6_T7_P12ihipStream_tbENKUlT_T0_E_clISt17integral_constantIbLb0EES14_IbLb1EEEEDaS10_S11_EUlS10_E_NS1_11comp_targetILNS1_3genE2ELNS1_11target_archE906ELNS1_3gpuE6ELNS1_3repE0EEENS1_30default_config_static_selectorELNS0_4arch9wavefront6targetE0EEEvT1_.has_recursion, 0
	.set _ZN7rocprim17ROCPRIM_400000_NS6detail17trampoline_kernelINS0_14default_configENS1_27scan_by_key_config_selectorImiEEZZNS1_16scan_by_key_implILNS1_25lookback_scan_determinismE0ELb0ES3_N6thrust23THRUST_200600_302600_NS18transform_iteratorI9row_indexNS9_17counting_iteratorImNS9_11use_defaultESD_SD_EESD_SD_EENS9_6detail15normal_iteratorINS9_10device_ptrIiEEEESK_iNS9_4plusIvEENS9_8equal_toIvEEiEE10hipError_tPvRmT2_T3_T4_T5_mT6_T7_P12ihipStream_tbENKUlT_T0_E_clISt17integral_constantIbLb0EES14_IbLb1EEEEDaS10_S11_EUlS10_E_NS1_11comp_targetILNS1_3genE2ELNS1_11target_archE906ELNS1_3gpuE6ELNS1_3repE0EEENS1_30default_config_static_selectorELNS0_4arch9wavefront6targetE0EEEvT1_.has_indirect_call, 0
	.section	.AMDGPU.csdata,"",@progbits
; Kernel info:
; codeLenInByte = 0
; TotalNumSgprs: 0
; NumVgprs: 0
; ScratchSize: 0
; MemoryBound: 0
; FloatMode: 240
; IeeeMode: 1
; LDSByteSize: 0 bytes/workgroup (compile time only)
; SGPRBlocks: 0
; VGPRBlocks: 0
; NumSGPRsForWavesPerEU: 1
; NumVGPRsForWavesPerEU: 1
; Occupancy: 16
; WaveLimiterHint : 0
; COMPUTE_PGM_RSRC2:SCRATCH_EN: 0
; COMPUTE_PGM_RSRC2:USER_SGPR: 6
; COMPUTE_PGM_RSRC2:TRAP_HANDLER: 0
; COMPUTE_PGM_RSRC2:TGID_X_EN: 1
; COMPUTE_PGM_RSRC2:TGID_Y_EN: 0
; COMPUTE_PGM_RSRC2:TGID_Z_EN: 0
; COMPUTE_PGM_RSRC2:TIDIG_COMP_CNT: 0
	.section	.text._ZN7rocprim17ROCPRIM_400000_NS6detail17trampoline_kernelINS0_14default_configENS1_27scan_by_key_config_selectorImiEEZZNS1_16scan_by_key_implILNS1_25lookback_scan_determinismE0ELb0ES3_N6thrust23THRUST_200600_302600_NS18transform_iteratorI9row_indexNS9_17counting_iteratorImNS9_11use_defaultESD_SD_EESD_SD_EENS9_6detail15normal_iteratorINS9_10device_ptrIiEEEESK_iNS9_4plusIvEENS9_8equal_toIvEEiEE10hipError_tPvRmT2_T3_T4_T5_mT6_T7_P12ihipStream_tbENKUlT_T0_E_clISt17integral_constantIbLb0EES14_IbLb1EEEEDaS10_S11_EUlS10_E_NS1_11comp_targetILNS1_3genE10ELNS1_11target_archE1200ELNS1_3gpuE4ELNS1_3repE0EEENS1_30default_config_static_selectorELNS0_4arch9wavefront6targetE0EEEvT1_,"axG",@progbits,_ZN7rocprim17ROCPRIM_400000_NS6detail17trampoline_kernelINS0_14default_configENS1_27scan_by_key_config_selectorImiEEZZNS1_16scan_by_key_implILNS1_25lookback_scan_determinismE0ELb0ES3_N6thrust23THRUST_200600_302600_NS18transform_iteratorI9row_indexNS9_17counting_iteratorImNS9_11use_defaultESD_SD_EESD_SD_EENS9_6detail15normal_iteratorINS9_10device_ptrIiEEEESK_iNS9_4plusIvEENS9_8equal_toIvEEiEE10hipError_tPvRmT2_T3_T4_T5_mT6_T7_P12ihipStream_tbENKUlT_T0_E_clISt17integral_constantIbLb0EES14_IbLb1EEEEDaS10_S11_EUlS10_E_NS1_11comp_targetILNS1_3genE10ELNS1_11target_archE1200ELNS1_3gpuE4ELNS1_3repE0EEENS1_30default_config_static_selectorELNS0_4arch9wavefront6targetE0EEEvT1_,comdat
	.protected	_ZN7rocprim17ROCPRIM_400000_NS6detail17trampoline_kernelINS0_14default_configENS1_27scan_by_key_config_selectorImiEEZZNS1_16scan_by_key_implILNS1_25lookback_scan_determinismE0ELb0ES3_N6thrust23THRUST_200600_302600_NS18transform_iteratorI9row_indexNS9_17counting_iteratorImNS9_11use_defaultESD_SD_EESD_SD_EENS9_6detail15normal_iteratorINS9_10device_ptrIiEEEESK_iNS9_4plusIvEENS9_8equal_toIvEEiEE10hipError_tPvRmT2_T3_T4_T5_mT6_T7_P12ihipStream_tbENKUlT_T0_E_clISt17integral_constantIbLb0EES14_IbLb1EEEEDaS10_S11_EUlS10_E_NS1_11comp_targetILNS1_3genE10ELNS1_11target_archE1200ELNS1_3gpuE4ELNS1_3repE0EEENS1_30default_config_static_selectorELNS0_4arch9wavefront6targetE0EEEvT1_ ; -- Begin function _ZN7rocprim17ROCPRIM_400000_NS6detail17trampoline_kernelINS0_14default_configENS1_27scan_by_key_config_selectorImiEEZZNS1_16scan_by_key_implILNS1_25lookback_scan_determinismE0ELb0ES3_N6thrust23THRUST_200600_302600_NS18transform_iteratorI9row_indexNS9_17counting_iteratorImNS9_11use_defaultESD_SD_EESD_SD_EENS9_6detail15normal_iteratorINS9_10device_ptrIiEEEESK_iNS9_4plusIvEENS9_8equal_toIvEEiEE10hipError_tPvRmT2_T3_T4_T5_mT6_T7_P12ihipStream_tbENKUlT_T0_E_clISt17integral_constantIbLb0EES14_IbLb1EEEEDaS10_S11_EUlS10_E_NS1_11comp_targetILNS1_3genE10ELNS1_11target_archE1200ELNS1_3gpuE4ELNS1_3repE0EEENS1_30default_config_static_selectorELNS0_4arch9wavefront6targetE0EEEvT1_
	.globl	_ZN7rocprim17ROCPRIM_400000_NS6detail17trampoline_kernelINS0_14default_configENS1_27scan_by_key_config_selectorImiEEZZNS1_16scan_by_key_implILNS1_25lookback_scan_determinismE0ELb0ES3_N6thrust23THRUST_200600_302600_NS18transform_iteratorI9row_indexNS9_17counting_iteratorImNS9_11use_defaultESD_SD_EESD_SD_EENS9_6detail15normal_iteratorINS9_10device_ptrIiEEEESK_iNS9_4plusIvEENS9_8equal_toIvEEiEE10hipError_tPvRmT2_T3_T4_T5_mT6_T7_P12ihipStream_tbENKUlT_T0_E_clISt17integral_constantIbLb0EES14_IbLb1EEEEDaS10_S11_EUlS10_E_NS1_11comp_targetILNS1_3genE10ELNS1_11target_archE1200ELNS1_3gpuE4ELNS1_3repE0EEENS1_30default_config_static_selectorELNS0_4arch9wavefront6targetE0EEEvT1_
	.p2align	8
	.type	_ZN7rocprim17ROCPRIM_400000_NS6detail17trampoline_kernelINS0_14default_configENS1_27scan_by_key_config_selectorImiEEZZNS1_16scan_by_key_implILNS1_25lookback_scan_determinismE0ELb0ES3_N6thrust23THRUST_200600_302600_NS18transform_iteratorI9row_indexNS9_17counting_iteratorImNS9_11use_defaultESD_SD_EESD_SD_EENS9_6detail15normal_iteratorINS9_10device_ptrIiEEEESK_iNS9_4plusIvEENS9_8equal_toIvEEiEE10hipError_tPvRmT2_T3_T4_T5_mT6_T7_P12ihipStream_tbENKUlT_T0_E_clISt17integral_constantIbLb0EES14_IbLb1EEEEDaS10_S11_EUlS10_E_NS1_11comp_targetILNS1_3genE10ELNS1_11target_archE1200ELNS1_3gpuE4ELNS1_3repE0EEENS1_30default_config_static_selectorELNS0_4arch9wavefront6targetE0EEEvT1_,@function
_ZN7rocprim17ROCPRIM_400000_NS6detail17trampoline_kernelINS0_14default_configENS1_27scan_by_key_config_selectorImiEEZZNS1_16scan_by_key_implILNS1_25lookback_scan_determinismE0ELb0ES3_N6thrust23THRUST_200600_302600_NS18transform_iteratorI9row_indexNS9_17counting_iteratorImNS9_11use_defaultESD_SD_EESD_SD_EENS9_6detail15normal_iteratorINS9_10device_ptrIiEEEESK_iNS9_4plusIvEENS9_8equal_toIvEEiEE10hipError_tPvRmT2_T3_T4_T5_mT6_T7_P12ihipStream_tbENKUlT_T0_E_clISt17integral_constantIbLb0EES14_IbLb1EEEEDaS10_S11_EUlS10_E_NS1_11comp_targetILNS1_3genE10ELNS1_11target_archE1200ELNS1_3gpuE4ELNS1_3repE0EEENS1_30default_config_static_selectorELNS0_4arch9wavefront6targetE0EEEvT1_: ; @_ZN7rocprim17ROCPRIM_400000_NS6detail17trampoline_kernelINS0_14default_configENS1_27scan_by_key_config_selectorImiEEZZNS1_16scan_by_key_implILNS1_25lookback_scan_determinismE0ELb0ES3_N6thrust23THRUST_200600_302600_NS18transform_iteratorI9row_indexNS9_17counting_iteratorImNS9_11use_defaultESD_SD_EESD_SD_EENS9_6detail15normal_iteratorINS9_10device_ptrIiEEEESK_iNS9_4plusIvEENS9_8equal_toIvEEiEE10hipError_tPvRmT2_T3_T4_T5_mT6_T7_P12ihipStream_tbENKUlT_T0_E_clISt17integral_constantIbLb0EES14_IbLb1EEEEDaS10_S11_EUlS10_E_NS1_11comp_targetILNS1_3genE10ELNS1_11target_archE1200ELNS1_3gpuE4ELNS1_3repE0EEENS1_30default_config_static_selectorELNS0_4arch9wavefront6targetE0EEEvT1_
; %bb.0:
	.section	.rodata,"a",@progbits
	.p2align	6, 0x0
	.amdhsa_kernel _ZN7rocprim17ROCPRIM_400000_NS6detail17trampoline_kernelINS0_14default_configENS1_27scan_by_key_config_selectorImiEEZZNS1_16scan_by_key_implILNS1_25lookback_scan_determinismE0ELb0ES3_N6thrust23THRUST_200600_302600_NS18transform_iteratorI9row_indexNS9_17counting_iteratorImNS9_11use_defaultESD_SD_EESD_SD_EENS9_6detail15normal_iteratorINS9_10device_ptrIiEEEESK_iNS9_4plusIvEENS9_8equal_toIvEEiEE10hipError_tPvRmT2_T3_T4_T5_mT6_T7_P12ihipStream_tbENKUlT_T0_E_clISt17integral_constantIbLb0EES14_IbLb1EEEEDaS10_S11_EUlS10_E_NS1_11comp_targetILNS1_3genE10ELNS1_11target_archE1200ELNS1_3gpuE4ELNS1_3repE0EEENS1_30default_config_static_selectorELNS0_4arch9wavefront6targetE0EEEvT1_
		.amdhsa_group_segment_fixed_size 0
		.amdhsa_private_segment_fixed_size 0
		.amdhsa_kernarg_size 120
		.amdhsa_user_sgpr_count 6
		.amdhsa_user_sgpr_private_segment_buffer 1
		.amdhsa_user_sgpr_dispatch_ptr 0
		.amdhsa_user_sgpr_queue_ptr 0
		.amdhsa_user_sgpr_kernarg_segment_ptr 1
		.amdhsa_user_sgpr_dispatch_id 0
		.amdhsa_user_sgpr_flat_scratch_init 0
		.amdhsa_user_sgpr_private_segment_size 0
		.amdhsa_wavefront_size32 1
		.amdhsa_uses_dynamic_stack 0
		.amdhsa_system_sgpr_private_segment_wavefront_offset 0
		.amdhsa_system_sgpr_workgroup_id_x 1
		.amdhsa_system_sgpr_workgroup_id_y 0
		.amdhsa_system_sgpr_workgroup_id_z 0
		.amdhsa_system_sgpr_workgroup_info 0
		.amdhsa_system_vgpr_workitem_id 0
		.amdhsa_next_free_vgpr 1
		.amdhsa_next_free_sgpr 1
		.amdhsa_reserve_vcc 0
		.amdhsa_reserve_flat_scratch 0
		.amdhsa_float_round_mode_32 0
		.amdhsa_float_round_mode_16_64 0
		.amdhsa_float_denorm_mode_32 3
		.amdhsa_float_denorm_mode_16_64 3
		.amdhsa_dx10_clamp 1
		.amdhsa_ieee_mode 1
		.amdhsa_fp16_overflow 0
		.amdhsa_workgroup_processor_mode 1
		.amdhsa_memory_ordered 1
		.amdhsa_forward_progress 1
		.amdhsa_shared_vgpr_count 0
		.amdhsa_exception_fp_ieee_invalid_op 0
		.amdhsa_exception_fp_denorm_src 0
		.amdhsa_exception_fp_ieee_div_zero 0
		.amdhsa_exception_fp_ieee_overflow 0
		.amdhsa_exception_fp_ieee_underflow 0
		.amdhsa_exception_fp_ieee_inexact 0
		.amdhsa_exception_int_div_zero 0
	.end_amdhsa_kernel
	.section	.text._ZN7rocprim17ROCPRIM_400000_NS6detail17trampoline_kernelINS0_14default_configENS1_27scan_by_key_config_selectorImiEEZZNS1_16scan_by_key_implILNS1_25lookback_scan_determinismE0ELb0ES3_N6thrust23THRUST_200600_302600_NS18transform_iteratorI9row_indexNS9_17counting_iteratorImNS9_11use_defaultESD_SD_EESD_SD_EENS9_6detail15normal_iteratorINS9_10device_ptrIiEEEESK_iNS9_4plusIvEENS9_8equal_toIvEEiEE10hipError_tPvRmT2_T3_T4_T5_mT6_T7_P12ihipStream_tbENKUlT_T0_E_clISt17integral_constantIbLb0EES14_IbLb1EEEEDaS10_S11_EUlS10_E_NS1_11comp_targetILNS1_3genE10ELNS1_11target_archE1200ELNS1_3gpuE4ELNS1_3repE0EEENS1_30default_config_static_selectorELNS0_4arch9wavefront6targetE0EEEvT1_,"axG",@progbits,_ZN7rocprim17ROCPRIM_400000_NS6detail17trampoline_kernelINS0_14default_configENS1_27scan_by_key_config_selectorImiEEZZNS1_16scan_by_key_implILNS1_25lookback_scan_determinismE0ELb0ES3_N6thrust23THRUST_200600_302600_NS18transform_iteratorI9row_indexNS9_17counting_iteratorImNS9_11use_defaultESD_SD_EESD_SD_EENS9_6detail15normal_iteratorINS9_10device_ptrIiEEEESK_iNS9_4plusIvEENS9_8equal_toIvEEiEE10hipError_tPvRmT2_T3_T4_T5_mT6_T7_P12ihipStream_tbENKUlT_T0_E_clISt17integral_constantIbLb0EES14_IbLb1EEEEDaS10_S11_EUlS10_E_NS1_11comp_targetILNS1_3genE10ELNS1_11target_archE1200ELNS1_3gpuE4ELNS1_3repE0EEENS1_30default_config_static_selectorELNS0_4arch9wavefront6targetE0EEEvT1_,comdat
.Lfunc_end42:
	.size	_ZN7rocprim17ROCPRIM_400000_NS6detail17trampoline_kernelINS0_14default_configENS1_27scan_by_key_config_selectorImiEEZZNS1_16scan_by_key_implILNS1_25lookback_scan_determinismE0ELb0ES3_N6thrust23THRUST_200600_302600_NS18transform_iteratorI9row_indexNS9_17counting_iteratorImNS9_11use_defaultESD_SD_EESD_SD_EENS9_6detail15normal_iteratorINS9_10device_ptrIiEEEESK_iNS9_4plusIvEENS9_8equal_toIvEEiEE10hipError_tPvRmT2_T3_T4_T5_mT6_T7_P12ihipStream_tbENKUlT_T0_E_clISt17integral_constantIbLb0EES14_IbLb1EEEEDaS10_S11_EUlS10_E_NS1_11comp_targetILNS1_3genE10ELNS1_11target_archE1200ELNS1_3gpuE4ELNS1_3repE0EEENS1_30default_config_static_selectorELNS0_4arch9wavefront6targetE0EEEvT1_, .Lfunc_end42-_ZN7rocprim17ROCPRIM_400000_NS6detail17trampoline_kernelINS0_14default_configENS1_27scan_by_key_config_selectorImiEEZZNS1_16scan_by_key_implILNS1_25lookback_scan_determinismE0ELb0ES3_N6thrust23THRUST_200600_302600_NS18transform_iteratorI9row_indexNS9_17counting_iteratorImNS9_11use_defaultESD_SD_EESD_SD_EENS9_6detail15normal_iteratorINS9_10device_ptrIiEEEESK_iNS9_4plusIvEENS9_8equal_toIvEEiEE10hipError_tPvRmT2_T3_T4_T5_mT6_T7_P12ihipStream_tbENKUlT_T0_E_clISt17integral_constantIbLb0EES14_IbLb1EEEEDaS10_S11_EUlS10_E_NS1_11comp_targetILNS1_3genE10ELNS1_11target_archE1200ELNS1_3gpuE4ELNS1_3repE0EEENS1_30default_config_static_selectorELNS0_4arch9wavefront6targetE0EEEvT1_
                                        ; -- End function
	.set _ZN7rocprim17ROCPRIM_400000_NS6detail17trampoline_kernelINS0_14default_configENS1_27scan_by_key_config_selectorImiEEZZNS1_16scan_by_key_implILNS1_25lookback_scan_determinismE0ELb0ES3_N6thrust23THRUST_200600_302600_NS18transform_iteratorI9row_indexNS9_17counting_iteratorImNS9_11use_defaultESD_SD_EESD_SD_EENS9_6detail15normal_iteratorINS9_10device_ptrIiEEEESK_iNS9_4plusIvEENS9_8equal_toIvEEiEE10hipError_tPvRmT2_T3_T4_T5_mT6_T7_P12ihipStream_tbENKUlT_T0_E_clISt17integral_constantIbLb0EES14_IbLb1EEEEDaS10_S11_EUlS10_E_NS1_11comp_targetILNS1_3genE10ELNS1_11target_archE1200ELNS1_3gpuE4ELNS1_3repE0EEENS1_30default_config_static_selectorELNS0_4arch9wavefront6targetE0EEEvT1_.num_vgpr, 0
	.set _ZN7rocprim17ROCPRIM_400000_NS6detail17trampoline_kernelINS0_14default_configENS1_27scan_by_key_config_selectorImiEEZZNS1_16scan_by_key_implILNS1_25lookback_scan_determinismE0ELb0ES3_N6thrust23THRUST_200600_302600_NS18transform_iteratorI9row_indexNS9_17counting_iteratorImNS9_11use_defaultESD_SD_EESD_SD_EENS9_6detail15normal_iteratorINS9_10device_ptrIiEEEESK_iNS9_4plusIvEENS9_8equal_toIvEEiEE10hipError_tPvRmT2_T3_T4_T5_mT6_T7_P12ihipStream_tbENKUlT_T0_E_clISt17integral_constantIbLb0EES14_IbLb1EEEEDaS10_S11_EUlS10_E_NS1_11comp_targetILNS1_3genE10ELNS1_11target_archE1200ELNS1_3gpuE4ELNS1_3repE0EEENS1_30default_config_static_selectorELNS0_4arch9wavefront6targetE0EEEvT1_.num_agpr, 0
	.set _ZN7rocprim17ROCPRIM_400000_NS6detail17trampoline_kernelINS0_14default_configENS1_27scan_by_key_config_selectorImiEEZZNS1_16scan_by_key_implILNS1_25lookback_scan_determinismE0ELb0ES3_N6thrust23THRUST_200600_302600_NS18transform_iteratorI9row_indexNS9_17counting_iteratorImNS9_11use_defaultESD_SD_EESD_SD_EENS9_6detail15normal_iteratorINS9_10device_ptrIiEEEESK_iNS9_4plusIvEENS9_8equal_toIvEEiEE10hipError_tPvRmT2_T3_T4_T5_mT6_T7_P12ihipStream_tbENKUlT_T0_E_clISt17integral_constantIbLb0EES14_IbLb1EEEEDaS10_S11_EUlS10_E_NS1_11comp_targetILNS1_3genE10ELNS1_11target_archE1200ELNS1_3gpuE4ELNS1_3repE0EEENS1_30default_config_static_selectorELNS0_4arch9wavefront6targetE0EEEvT1_.numbered_sgpr, 0
	.set _ZN7rocprim17ROCPRIM_400000_NS6detail17trampoline_kernelINS0_14default_configENS1_27scan_by_key_config_selectorImiEEZZNS1_16scan_by_key_implILNS1_25lookback_scan_determinismE0ELb0ES3_N6thrust23THRUST_200600_302600_NS18transform_iteratorI9row_indexNS9_17counting_iteratorImNS9_11use_defaultESD_SD_EESD_SD_EENS9_6detail15normal_iteratorINS9_10device_ptrIiEEEESK_iNS9_4plusIvEENS9_8equal_toIvEEiEE10hipError_tPvRmT2_T3_T4_T5_mT6_T7_P12ihipStream_tbENKUlT_T0_E_clISt17integral_constantIbLb0EES14_IbLb1EEEEDaS10_S11_EUlS10_E_NS1_11comp_targetILNS1_3genE10ELNS1_11target_archE1200ELNS1_3gpuE4ELNS1_3repE0EEENS1_30default_config_static_selectorELNS0_4arch9wavefront6targetE0EEEvT1_.num_named_barrier, 0
	.set _ZN7rocprim17ROCPRIM_400000_NS6detail17trampoline_kernelINS0_14default_configENS1_27scan_by_key_config_selectorImiEEZZNS1_16scan_by_key_implILNS1_25lookback_scan_determinismE0ELb0ES3_N6thrust23THRUST_200600_302600_NS18transform_iteratorI9row_indexNS9_17counting_iteratorImNS9_11use_defaultESD_SD_EESD_SD_EENS9_6detail15normal_iteratorINS9_10device_ptrIiEEEESK_iNS9_4plusIvEENS9_8equal_toIvEEiEE10hipError_tPvRmT2_T3_T4_T5_mT6_T7_P12ihipStream_tbENKUlT_T0_E_clISt17integral_constantIbLb0EES14_IbLb1EEEEDaS10_S11_EUlS10_E_NS1_11comp_targetILNS1_3genE10ELNS1_11target_archE1200ELNS1_3gpuE4ELNS1_3repE0EEENS1_30default_config_static_selectorELNS0_4arch9wavefront6targetE0EEEvT1_.private_seg_size, 0
	.set _ZN7rocprim17ROCPRIM_400000_NS6detail17trampoline_kernelINS0_14default_configENS1_27scan_by_key_config_selectorImiEEZZNS1_16scan_by_key_implILNS1_25lookback_scan_determinismE0ELb0ES3_N6thrust23THRUST_200600_302600_NS18transform_iteratorI9row_indexNS9_17counting_iteratorImNS9_11use_defaultESD_SD_EESD_SD_EENS9_6detail15normal_iteratorINS9_10device_ptrIiEEEESK_iNS9_4plusIvEENS9_8equal_toIvEEiEE10hipError_tPvRmT2_T3_T4_T5_mT6_T7_P12ihipStream_tbENKUlT_T0_E_clISt17integral_constantIbLb0EES14_IbLb1EEEEDaS10_S11_EUlS10_E_NS1_11comp_targetILNS1_3genE10ELNS1_11target_archE1200ELNS1_3gpuE4ELNS1_3repE0EEENS1_30default_config_static_selectorELNS0_4arch9wavefront6targetE0EEEvT1_.uses_vcc, 0
	.set _ZN7rocprim17ROCPRIM_400000_NS6detail17trampoline_kernelINS0_14default_configENS1_27scan_by_key_config_selectorImiEEZZNS1_16scan_by_key_implILNS1_25lookback_scan_determinismE0ELb0ES3_N6thrust23THRUST_200600_302600_NS18transform_iteratorI9row_indexNS9_17counting_iteratorImNS9_11use_defaultESD_SD_EESD_SD_EENS9_6detail15normal_iteratorINS9_10device_ptrIiEEEESK_iNS9_4plusIvEENS9_8equal_toIvEEiEE10hipError_tPvRmT2_T3_T4_T5_mT6_T7_P12ihipStream_tbENKUlT_T0_E_clISt17integral_constantIbLb0EES14_IbLb1EEEEDaS10_S11_EUlS10_E_NS1_11comp_targetILNS1_3genE10ELNS1_11target_archE1200ELNS1_3gpuE4ELNS1_3repE0EEENS1_30default_config_static_selectorELNS0_4arch9wavefront6targetE0EEEvT1_.uses_flat_scratch, 0
	.set _ZN7rocprim17ROCPRIM_400000_NS6detail17trampoline_kernelINS0_14default_configENS1_27scan_by_key_config_selectorImiEEZZNS1_16scan_by_key_implILNS1_25lookback_scan_determinismE0ELb0ES3_N6thrust23THRUST_200600_302600_NS18transform_iteratorI9row_indexNS9_17counting_iteratorImNS9_11use_defaultESD_SD_EESD_SD_EENS9_6detail15normal_iteratorINS9_10device_ptrIiEEEESK_iNS9_4plusIvEENS9_8equal_toIvEEiEE10hipError_tPvRmT2_T3_T4_T5_mT6_T7_P12ihipStream_tbENKUlT_T0_E_clISt17integral_constantIbLb0EES14_IbLb1EEEEDaS10_S11_EUlS10_E_NS1_11comp_targetILNS1_3genE10ELNS1_11target_archE1200ELNS1_3gpuE4ELNS1_3repE0EEENS1_30default_config_static_selectorELNS0_4arch9wavefront6targetE0EEEvT1_.has_dyn_sized_stack, 0
	.set _ZN7rocprim17ROCPRIM_400000_NS6detail17trampoline_kernelINS0_14default_configENS1_27scan_by_key_config_selectorImiEEZZNS1_16scan_by_key_implILNS1_25lookback_scan_determinismE0ELb0ES3_N6thrust23THRUST_200600_302600_NS18transform_iteratorI9row_indexNS9_17counting_iteratorImNS9_11use_defaultESD_SD_EESD_SD_EENS9_6detail15normal_iteratorINS9_10device_ptrIiEEEESK_iNS9_4plusIvEENS9_8equal_toIvEEiEE10hipError_tPvRmT2_T3_T4_T5_mT6_T7_P12ihipStream_tbENKUlT_T0_E_clISt17integral_constantIbLb0EES14_IbLb1EEEEDaS10_S11_EUlS10_E_NS1_11comp_targetILNS1_3genE10ELNS1_11target_archE1200ELNS1_3gpuE4ELNS1_3repE0EEENS1_30default_config_static_selectorELNS0_4arch9wavefront6targetE0EEEvT1_.has_recursion, 0
	.set _ZN7rocprim17ROCPRIM_400000_NS6detail17trampoline_kernelINS0_14default_configENS1_27scan_by_key_config_selectorImiEEZZNS1_16scan_by_key_implILNS1_25lookback_scan_determinismE0ELb0ES3_N6thrust23THRUST_200600_302600_NS18transform_iteratorI9row_indexNS9_17counting_iteratorImNS9_11use_defaultESD_SD_EESD_SD_EENS9_6detail15normal_iteratorINS9_10device_ptrIiEEEESK_iNS9_4plusIvEENS9_8equal_toIvEEiEE10hipError_tPvRmT2_T3_T4_T5_mT6_T7_P12ihipStream_tbENKUlT_T0_E_clISt17integral_constantIbLb0EES14_IbLb1EEEEDaS10_S11_EUlS10_E_NS1_11comp_targetILNS1_3genE10ELNS1_11target_archE1200ELNS1_3gpuE4ELNS1_3repE0EEENS1_30default_config_static_selectorELNS0_4arch9wavefront6targetE0EEEvT1_.has_indirect_call, 0
	.section	.AMDGPU.csdata,"",@progbits
; Kernel info:
; codeLenInByte = 0
; TotalNumSgprs: 0
; NumVgprs: 0
; ScratchSize: 0
; MemoryBound: 0
; FloatMode: 240
; IeeeMode: 1
; LDSByteSize: 0 bytes/workgroup (compile time only)
; SGPRBlocks: 0
; VGPRBlocks: 0
; NumSGPRsForWavesPerEU: 1
; NumVGPRsForWavesPerEU: 1
; Occupancy: 16
; WaveLimiterHint : 0
; COMPUTE_PGM_RSRC2:SCRATCH_EN: 0
; COMPUTE_PGM_RSRC2:USER_SGPR: 6
; COMPUTE_PGM_RSRC2:TRAP_HANDLER: 0
; COMPUTE_PGM_RSRC2:TGID_X_EN: 1
; COMPUTE_PGM_RSRC2:TGID_Y_EN: 0
; COMPUTE_PGM_RSRC2:TGID_Z_EN: 0
; COMPUTE_PGM_RSRC2:TIDIG_COMP_CNT: 0
	.section	.text._ZN7rocprim17ROCPRIM_400000_NS6detail17trampoline_kernelINS0_14default_configENS1_27scan_by_key_config_selectorImiEEZZNS1_16scan_by_key_implILNS1_25lookback_scan_determinismE0ELb0ES3_N6thrust23THRUST_200600_302600_NS18transform_iteratorI9row_indexNS9_17counting_iteratorImNS9_11use_defaultESD_SD_EESD_SD_EENS9_6detail15normal_iteratorINS9_10device_ptrIiEEEESK_iNS9_4plusIvEENS9_8equal_toIvEEiEE10hipError_tPvRmT2_T3_T4_T5_mT6_T7_P12ihipStream_tbENKUlT_T0_E_clISt17integral_constantIbLb0EES14_IbLb1EEEEDaS10_S11_EUlS10_E_NS1_11comp_targetILNS1_3genE9ELNS1_11target_archE1100ELNS1_3gpuE3ELNS1_3repE0EEENS1_30default_config_static_selectorELNS0_4arch9wavefront6targetE0EEEvT1_,"axG",@progbits,_ZN7rocprim17ROCPRIM_400000_NS6detail17trampoline_kernelINS0_14default_configENS1_27scan_by_key_config_selectorImiEEZZNS1_16scan_by_key_implILNS1_25lookback_scan_determinismE0ELb0ES3_N6thrust23THRUST_200600_302600_NS18transform_iteratorI9row_indexNS9_17counting_iteratorImNS9_11use_defaultESD_SD_EESD_SD_EENS9_6detail15normal_iteratorINS9_10device_ptrIiEEEESK_iNS9_4plusIvEENS9_8equal_toIvEEiEE10hipError_tPvRmT2_T3_T4_T5_mT6_T7_P12ihipStream_tbENKUlT_T0_E_clISt17integral_constantIbLb0EES14_IbLb1EEEEDaS10_S11_EUlS10_E_NS1_11comp_targetILNS1_3genE9ELNS1_11target_archE1100ELNS1_3gpuE3ELNS1_3repE0EEENS1_30default_config_static_selectorELNS0_4arch9wavefront6targetE0EEEvT1_,comdat
	.protected	_ZN7rocprim17ROCPRIM_400000_NS6detail17trampoline_kernelINS0_14default_configENS1_27scan_by_key_config_selectorImiEEZZNS1_16scan_by_key_implILNS1_25lookback_scan_determinismE0ELb0ES3_N6thrust23THRUST_200600_302600_NS18transform_iteratorI9row_indexNS9_17counting_iteratorImNS9_11use_defaultESD_SD_EESD_SD_EENS9_6detail15normal_iteratorINS9_10device_ptrIiEEEESK_iNS9_4plusIvEENS9_8equal_toIvEEiEE10hipError_tPvRmT2_T3_T4_T5_mT6_T7_P12ihipStream_tbENKUlT_T0_E_clISt17integral_constantIbLb0EES14_IbLb1EEEEDaS10_S11_EUlS10_E_NS1_11comp_targetILNS1_3genE9ELNS1_11target_archE1100ELNS1_3gpuE3ELNS1_3repE0EEENS1_30default_config_static_selectorELNS0_4arch9wavefront6targetE0EEEvT1_ ; -- Begin function _ZN7rocprim17ROCPRIM_400000_NS6detail17trampoline_kernelINS0_14default_configENS1_27scan_by_key_config_selectorImiEEZZNS1_16scan_by_key_implILNS1_25lookback_scan_determinismE0ELb0ES3_N6thrust23THRUST_200600_302600_NS18transform_iteratorI9row_indexNS9_17counting_iteratorImNS9_11use_defaultESD_SD_EESD_SD_EENS9_6detail15normal_iteratorINS9_10device_ptrIiEEEESK_iNS9_4plusIvEENS9_8equal_toIvEEiEE10hipError_tPvRmT2_T3_T4_T5_mT6_T7_P12ihipStream_tbENKUlT_T0_E_clISt17integral_constantIbLb0EES14_IbLb1EEEEDaS10_S11_EUlS10_E_NS1_11comp_targetILNS1_3genE9ELNS1_11target_archE1100ELNS1_3gpuE3ELNS1_3repE0EEENS1_30default_config_static_selectorELNS0_4arch9wavefront6targetE0EEEvT1_
	.globl	_ZN7rocprim17ROCPRIM_400000_NS6detail17trampoline_kernelINS0_14default_configENS1_27scan_by_key_config_selectorImiEEZZNS1_16scan_by_key_implILNS1_25lookback_scan_determinismE0ELb0ES3_N6thrust23THRUST_200600_302600_NS18transform_iteratorI9row_indexNS9_17counting_iteratorImNS9_11use_defaultESD_SD_EESD_SD_EENS9_6detail15normal_iteratorINS9_10device_ptrIiEEEESK_iNS9_4plusIvEENS9_8equal_toIvEEiEE10hipError_tPvRmT2_T3_T4_T5_mT6_T7_P12ihipStream_tbENKUlT_T0_E_clISt17integral_constantIbLb0EES14_IbLb1EEEEDaS10_S11_EUlS10_E_NS1_11comp_targetILNS1_3genE9ELNS1_11target_archE1100ELNS1_3gpuE3ELNS1_3repE0EEENS1_30default_config_static_selectorELNS0_4arch9wavefront6targetE0EEEvT1_
	.p2align	8
	.type	_ZN7rocprim17ROCPRIM_400000_NS6detail17trampoline_kernelINS0_14default_configENS1_27scan_by_key_config_selectorImiEEZZNS1_16scan_by_key_implILNS1_25lookback_scan_determinismE0ELb0ES3_N6thrust23THRUST_200600_302600_NS18transform_iteratorI9row_indexNS9_17counting_iteratorImNS9_11use_defaultESD_SD_EESD_SD_EENS9_6detail15normal_iteratorINS9_10device_ptrIiEEEESK_iNS9_4plusIvEENS9_8equal_toIvEEiEE10hipError_tPvRmT2_T3_T4_T5_mT6_T7_P12ihipStream_tbENKUlT_T0_E_clISt17integral_constantIbLb0EES14_IbLb1EEEEDaS10_S11_EUlS10_E_NS1_11comp_targetILNS1_3genE9ELNS1_11target_archE1100ELNS1_3gpuE3ELNS1_3repE0EEENS1_30default_config_static_selectorELNS0_4arch9wavefront6targetE0EEEvT1_,@function
_ZN7rocprim17ROCPRIM_400000_NS6detail17trampoline_kernelINS0_14default_configENS1_27scan_by_key_config_selectorImiEEZZNS1_16scan_by_key_implILNS1_25lookback_scan_determinismE0ELb0ES3_N6thrust23THRUST_200600_302600_NS18transform_iteratorI9row_indexNS9_17counting_iteratorImNS9_11use_defaultESD_SD_EESD_SD_EENS9_6detail15normal_iteratorINS9_10device_ptrIiEEEESK_iNS9_4plusIvEENS9_8equal_toIvEEiEE10hipError_tPvRmT2_T3_T4_T5_mT6_T7_P12ihipStream_tbENKUlT_T0_E_clISt17integral_constantIbLb0EES14_IbLb1EEEEDaS10_S11_EUlS10_E_NS1_11comp_targetILNS1_3genE9ELNS1_11target_archE1100ELNS1_3gpuE3ELNS1_3repE0EEENS1_30default_config_static_selectorELNS0_4arch9wavefront6targetE0EEEvT1_: ; @_ZN7rocprim17ROCPRIM_400000_NS6detail17trampoline_kernelINS0_14default_configENS1_27scan_by_key_config_selectorImiEEZZNS1_16scan_by_key_implILNS1_25lookback_scan_determinismE0ELb0ES3_N6thrust23THRUST_200600_302600_NS18transform_iteratorI9row_indexNS9_17counting_iteratorImNS9_11use_defaultESD_SD_EESD_SD_EENS9_6detail15normal_iteratorINS9_10device_ptrIiEEEESK_iNS9_4plusIvEENS9_8equal_toIvEEiEE10hipError_tPvRmT2_T3_T4_T5_mT6_T7_P12ihipStream_tbENKUlT_T0_E_clISt17integral_constantIbLb0EES14_IbLb1EEEEDaS10_S11_EUlS10_E_NS1_11comp_targetILNS1_3genE9ELNS1_11target_archE1100ELNS1_3gpuE3ELNS1_3repE0EEENS1_30default_config_static_selectorELNS0_4arch9wavefront6targetE0EEEvT1_
; %bb.0:
	.section	.rodata,"a",@progbits
	.p2align	6, 0x0
	.amdhsa_kernel _ZN7rocprim17ROCPRIM_400000_NS6detail17trampoline_kernelINS0_14default_configENS1_27scan_by_key_config_selectorImiEEZZNS1_16scan_by_key_implILNS1_25lookback_scan_determinismE0ELb0ES3_N6thrust23THRUST_200600_302600_NS18transform_iteratorI9row_indexNS9_17counting_iteratorImNS9_11use_defaultESD_SD_EESD_SD_EENS9_6detail15normal_iteratorINS9_10device_ptrIiEEEESK_iNS9_4plusIvEENS9_8equal_toIvEEiEE10hipError_tPvRmT2_T3_T4_T5_mT6_T7_P12ihipStream_tbENKUlT_T0_E_clISt17integral_constantIbLb0EES14_IbLb1EEEEDaS10_S11_EUlS10_E_NS1_11comp_targetILNS1_3genE9ELNS1_11target_archE1100ELNS1_3gpuE3ELNS1_3repE0EEENS1_30default_config_static_selectorELNS0_4arch9wavefront6targetE0EEEvT1_
		.amdhsa_group_segment_fixed_size 0
		.amdhsa_private_segment_fixed_size 0
		.amdhsa_kernarg_size 120
		.amdhsa_user_sgpr_count 6
		.amdhsa_user_sgpr_private_segment_buffer 1
		.amdhsa_user_sgpr_dispatch_ptr 0
		.amdhsa_user_sgpr_queue_ptr 0
		.amdhsa_user_sgpr_kernarg_segment_ptr 1
		.amdhsa_user_sgpr_dispatch_id 0
		.amdhsa_user_sgpr_flat_scratch_init 0
		.amdhsa_user_sgpr_private_segment_size 0
		.amdhsa_wavefront_size32 1
		.amdhsa_uses_dynamic_stack 0
		.amdhsa_system_sgpr_private_segment_wavefront_offset 0
		.amdhsa_system_sgpr_workgroup_id_x 1
		.amdhsa_system_sgpr_workgroup_id_y 0
		.amdhsa_system_sgpr_workgroup_id_z 0
		.amdhsa_system_sgpr_workgroup_info 0
		.amdhsa_system_vgpr_workitem_id 0
		.amdhsa_next_free_vgpr 1
		.amdhsa_next_free_sgpr 1
		.amdhsa_reserve_vcc 0
		.amdhsa_reserve_flat_scratch 0
		.amdhsa_float_round_mode_32 0
		.amdhsa_float_round_mode_16_64 0
		.amdhsa_float_denorm_mode_32 3
		.amdhsa_float_denorm_mode_16_64 3
		.amdhsa_dx10_clamp 1
		.amdhsa_ieee_mode 1
		.amdhsa_fp16_overflow 0
		.amdhsa_workgroup_processor_mode 1
		.amdhsa_memory_ordered 1
		.amdhsa_forward_progress 1
		.amdhsa_shared_vgpr_count 0
		.amdhsa_exception_fp_ieee_invalid_op 0
		.amdhsa_exception_fp_denorm_src 0
		.amdhsa_exception_fp_ieee_div_zero 0
		.amdhsa_exception_fp_ieee_overflow 0
		.amdhsa_exception_fp_ieee_underflow 0
		.amdhsa_exception_fp_ieee_inexact 0
		.amdhsa_exception_int_div_zero 0
	.end_amdhsa_kernel
	.section	.text._ZN7rocprim17ROCPRIM_400000_NS6detail17trampoline_kernelINS0_14default_configENS1_27scan_by_key_config_selectorImiEEZZNS1_16scan_by_key_implILNS1_25lookback_scan_determinismE0ELb0ES3_N6thrust23THRUST_200600_302600_NS18transform_iteratorI9row_indexNS9_17counting_iteratorImNS9_11use_defaultESD_SD_EESD_SD_EENS9_6detail15normal_iteratorINS9_10device_ptrIiEEEESK_iNS9_4plusIvEENS9_8equal_toIvEEiEE10hipError_tPvRmT2_T3_T4_T5_mT6_T7_P12ihipStream_tbENKUlT_T0_E_clISt17integral_constantIbLb0EES14_IbLb1EEEEDaS10_S11_EUlS10_E_NS1_11comp_targetILNS1_3genE9ELNS1_11target_archE1100ELNS1_3gpuE3ELNS1_3repE0EEENS1_30default_config_static_selectorELNS0_4arch9wavefront6targetE0EEEvT1_,"axG",@progbits,_ZN7rocprim17ROCPRIM_400000_NS6detail17trampoline_kernelINS0_14default_configENS1_27scan_by_key_config_selectorImiEEZZNS1_16scan_by_key_implILNS1_25lookback_scan_determinismE0ELb0ES3_N6thrust23THRUST_200600_302600_NS18transform_iteratorI9row_indexNS9_17counting_iteratorImNS9_11use_defaultESD_SD_EESD_SD_EENS9_6detail15normal_iteratorINS9_10device_ptrIiEEEESK_iNS9_4plusIvEENS9_8equal_toIvEEiEE10hipError_tPvRmT2_T3_T4_T5_mT6_T7_P12ihipStream_tbENKUlT_T0_E_clISt17integral_constantIbLb0EES14_IbLb1EEEEDaS10_S11_EUlS10_E_NS1_11comp_targetILNS1_3genE9ELNS1_11target_archE1100ELNS1_3gpuE3ELNS1_3repE0EEENS1_30default_config_static_selectorELNS0_4arch9wavefront6targetE0EEEvT1_,comdat
.Lfunc_end43:
	.size	_ZN7rocprim17ROCPRIM_400000_NS6detail17trampoline_kernelINS0_14default_configENS1_27scan_by_key_config_selectorImiEEZZNS1_16scan_by_key_implILNS1_25lookback_scan_determinismE0ELb0ES3_N6thrust23THRUST_200600_302600_NS18transform_iteratorI9row_indexNS9_17counting_iteratorImNS9_11use_defaultESD_SD_EESD_SD_EENS9_6detail15normal_iteratorINS9_10device_ptrIiEEEESK_iNS9_4plusIvEENS9_8equal_toIvEEiEE10hipError_tPvRmT2_T3_T4_T5_mT6_T7_P12ihipStream_tbENKUlT_T0_E_clISt17integral_constantIbLb0EES14_IbLb1EEEEDaS10_S11_EUlS10_E_NS1_11comp_targetILNS1_3genE9ELNS1_11target_archE1100ELNS1_3gpuE3ELNS1_3repE0EEENS1_30default_config_static_selectorELNS0_4arch9wavefront6targetE0EEEvT1_, .Lfunc_end43-_ZN7rocprim17ROCPRIM_400000_NS6detail17trampoline_kernelINS0_14default_configENS1_27scan_by_key_config_selectorImiEEZZNS1_16scan_by_key_implILNS1_25lookback_scan_determinismE0ELb0ES3_N6thrust23THRUST_200600_302600_NS18transform_iteratorI9row_indexNS9_17counting_iteratorImNS9_11use_defaultESD_SD_EESD_SD_EENS9_6detail15normal_iteratorINS9_10device_ptrIiEEEESK_iNS9_4plusIvEENS9_8equal_toIvEEiEE10hipError_tPvRmT2_T3_T4_T5_mT6_T7_P12ihipStream_tbENKUlT_T0_E_clISt17integral_constantIbLb0EES14_IbLb1EEEEDaS10_S11_EUlS10_E_NS1_11comp_targetILNS1_3genE9ELNS1_11target_archE1100ELNS1_3gpuE3ELNS1_3repE0EEENS1_30default_config_static_selectorELNS0_4arch9wavefront6targetE0EEEvT1_
                                        ; -- End function
	.set _ZN7rocprim17ROCPRIM_400000_NS6detail17trampoline_kernelINS0_14default_configENS1_27scan_by_key_config_selectorImiEEZZNS1_16scan_by_key_implILNS1_25lookback_scan_determinismE0ELb0ES3_N6thrust23THRUST_200600_302600_NS18transform_iteratorI9row_indexNS9_17counting_iteratorImNS9_11use_defaultESD_SD_EESD_SD_EENS9_6detail15normal_iteratorINS9_10device_ptrIiEEEESK_iNS9_4plusIvEENS9_8equal_toIvEEiEE10hipError_tPvRmT2_T3_T4_T5_mT6_T7_P12ihipStream_tbENKUlT_T0_E_clISt17integral_constantIbLb0EES14_IbLb1EEEEDaS10_S11_EUlS10_E_NS1_11comp_targetILNS1_3genE9ELNS1_11target_archE1100ELNS1_3gpuE3ELNS1_3repE0EEENS1_30default_config_static_selectorELNS0_4arch9wavefront6targetE0EEEvT1_.num_vgpr, 0
	.set _ZN7rocprim17ROCPRIM_400000_NS6detail17trampoline_kernelINS0_14default_configENS1_27scan_by_key_config_selectorImiEEZZNS1_16scan_by_key_implILNS1_25lookback_scan_determinismE0ELb0ES3_N6thrust23THRUST_200600_302600_NS18transform_iteratorI9row_indexNS9_17counting_iteratorImNS9_11use_defaultESD_SD_EESD_SD_EENS9_6detail15normal_iteratorINS9_10device_ptrIiEEEESK_iNS9_4plusIvEENS9_8equal_toIvEEiEE10hipError_tPvRmT2_T3_T4_T5_mT6_T7_P12ihipStream_tbENKUlT_T0_E_clISt17integral_constantIbLb0EES14_IbLb1EEEEDaS10_S11_EUlS10_E_NS1_11comp_targetILNS1_3genE9ELNS1_11target_archE1100ELNS1_3gpuE3ELNS1_3repE0EEENS1_30default_config_static_selectorELNS0_4arch9wavefront6targetE0EEEvT1_.num_agpr, 0
	.set _ZN7rocprim17ROCPRIM_400000_NS6detail17trampoline_kernelINS0_14default_configENS1_27scan_by_key_config_selectorImiEEZZNS1_16scan_by_key_implILNS1_25lookback_scan_determinismE0ELb0ES3_N6thrust23THRUST_200600_302600_NS18transform_iteratorI9row_indexNS9_17counting_iteratorImNS9_11use_defaultESD_SD_EESD_SD_EENS9_6detail15normal_iteratorINS9_10device_ptrIiEEEESK_iNS9_4plusIvEENS9_8equal_toIvEEiEE10hipError_tPvRmT2_T3_T4_T5_mT6_T7_P12ihipStream_tbENKUlT_T0_E_clISt17integral_constantIbLb0EES14_IbLb1EEEEDaS10_S11_EUlS10_E_NS1_11comp_targetILNS1_3genE9ELNS1_11target_archE1100ELNS1_3gpuE3ELNS1_3repE0EEENS1_30default_config_static_selectorELNS0_4arch9wavefront6targetE0EEEvT1_.numbered_sgpr, 0
	.set _ZN7rocprim17ROCPRIM_400000_NS6detail17trampoline_kernelINS0_14default_configENS1_27scan_by_key_config_selectorImiEEZZNS1_16scan_by_key_implILNS1_25lookback_scan_determinismE0ELb0ES3_N6thrust23THRUST_200600_302600_NS18transform_iteratorI9row_indexNS9_17counting_iteratorImNS9_11use_defaultESD_SD_EESD_SD_EENS9_6detail15normal_iteratorINS9_10device_ptrIiEEEESK_iNS9_4plusIvEENS9_8equal_toIvEEiEE10hipError_tPvRmT2_T3_T4_T5_mT6_T7_P12ihipStream_tbENKUlT_T0_E_clISt17integral_constantIbLb0EES14_IbLb1EEEEDaS10_S11_EUlS10_E_NS1_11comp_targetILNS1_3genE9ELNS1_11target_archE1100ELNS1_3gpuE3ELNS1_3repE0EEENS1_30default_config_static_selectorELNS0_4arch9wavefront6targetE0EEEvT1_.num_named_barrier, 0
	.set _ZN7rocprim17ROCPRIM_400000_NS6detail17trampoline_kernelINS0_14default_configENS1_27scan_by_key_config_selectorImiEEZZNS1_16scan_by_key_implILNS1_25lookback_scan_determinismE0ELb0ES3_N6thrust23THRUST_200600_302600_NS18transform_iteratorI9row_indexNS9_17counting_iteratorImNS9_11use_defaultESD_SD_EESD_SD_EENS9_6detail15normal_iteratorINS9_10device_ptrIiEEEESK_iNS9_4plusIvEENS9_8equal_toIvEEiEE10hipError_tPvRmT2_T3_T4_T5_mT6_T7_P12ihipStream_tbENKUlT_T0_E_clISt17integral_constantIbLb0EES14_IbLb1EEEEDaS10_S11_EUlS10_E_NS1_11comp_targetILNS1_3genE9ELNS1_11target_archE1100ELNS1_3gpuE3ELNS1_3repE0EEENS1_30default_config_static_selectorELNS0_4arch9wavefront6targetE0EEEvT1_.private_seg_size, 0
	.set _ZN7rocprim17ROCPRIM_400000_NS6detail17trampoline_kernelINS0_14default_configENS1_27scan_by_key_config_selectorImiEEZZNS1_16scan_by_key_implILNS1_25lookback_scan_determinismE0ELb0ES3_N6thrust23THRUST_200600_302600_NS18transform_iteratorI9row_indexNS9_17counting_iteratorImNS9_11use_defaultESD_SD_EESD_SD_EENS9_6detail15normal_iteratorINS9_10device_ptrIiEEEESK_iNS9_4plusIvEENS9_8equal_toIvEEiEE10hipError_tPvRmT2_T3_T4_T5_mT6_T7_P12ihipStream_tbENKUlT_T0_E_clISt17integral_constantIbLb0EES14_IbLb1EEEEDaS10_S11_EUlS10_E_NS1_11comp_targetILNS1_3genE9ELNS1_11target_archE1100ELNS1_3gpuE3ELNS1_3repE0EEENS1_30default_config_static_selectorELNS0_4arch9wavefront6targetE0EEEvT1_.uses_vcc, 0
	.set _ZN7rocprim17ROCPRIM_400000_NS6detail17trampoline_kernelINS0_14default_configENS1_27scan_by_key_config_selectorImiEEZZNS1_16scan_by_key_implILNS1_25lookback_scan_determinismE0ELb0ES3_N6thrust23THRUST_200600_302600_NS18transform_iteratorI9row_indexNS9_17counting_iteratorImNS9_11use_defaultESD_SD_EESD_SD_EENS9_6detail15normal_iteratorINS9_10device_ptrIiEEEESK_iNS9_4plusIvEENS9_8equal_toIvEEiEE10hipError_tPvRmT2_T3_T4_T5_mT6_T7_P12ihipStream_tbENKUlT_T0_E_clISt17integral_constantIbLb0EES14_IbLb1EEEEDaS10_S11_EUlS10_E_NS1_11comp_targetILNS1_3genE9ELNS1_11target_archE1100ELNS1_3gpuE3ELNS1_3repE0EEENS1_30default_config_static_selectorELNS0_4arch9wavefront6targetE0EEEvT1_.uses_flat_scratch, 0
	.set _ZN7rocprim17ROCPRIM_400000_NS6detail17trampoline_kernelINS0_14default_configENS1_27scan_by_key_config_selectorImiEEZZNS1_16scan_by_key_implILNS1_25lookback_scan_determinismE0ELb0ES3_N6thrust23THRUST_200600_302600_NS18transform_iteratorI9row_indexNS9_17counting_iteratorImNS9_11use_defaultESD_SD_EESD_SD_EENS9_6detail15normal_iteratorINS9_10device_ptrIiEEEESK_iNS9_4plusIvEENS9_8equal_toIvEEiEE10hipError_tPvRmT2_T3_T4_T5_mT6_T7_P12ihipStream_tbENKUlT_T0_E_clISt17integral_constantIbLb0EES14_IbLb1EEEEDaS10_S11_EUlS10_E_NS1_11comp_targetILNS1_3genE9ELNS1_11target_archE1100ELNS1_3gpuE3ELNS1_3repE0EEENS1_30default_config_static_selectorELNS0_4arch9wavefront6targetE0EEEvT1_.has_dyn_sized_stack, 0
	.set _ZN7rocprim17ROCPRIM_400000_NS6detail17trampoline_kernelINS0_14default_configENS1_27scan_by_key_config_selectorImiEEZZNS1_16scan_by_key_implILNS1_25lookback_scan_determinismE0ELb0ES3_N6thrust23THRUST_200600_302600_NS18transform_iteratorI9row_indexNS9_17counting_iteratorImNS9_11use_defaultESD_SD_EESD_SD_EENS9_6detail15normal_iteratorINS9_10device_ptrIiEEEESK_iNS9_4plusIvEENS9_8equal_toIvEEiEE10hipError_tPvRmT2_T3_T4_T5_mT6_T7_P12ihipStream_tbENKUlT_T0_E_clISt17integral_constantIbLb0EES14_IbLb1EEEEDaS10_S11_EUlS10_E_NS1_11comp_targetILNS1_3genE9ELNS1_11target_archE1100ELNS1_3gpuE3ELNS1_3repE0EEENS1_30default_config_static_selectorELNS0_4arch9wavefront6targetE0EEEvT1_.has_recursion, 0
	.set _ZN7rocprim17ROCPRIM_400000_NS6detail17trampoline_kernelINS0_14default_configENS1_27scan_by_key_config_selectorImiEEZZNS1_16scan_by_key_implILNS1_25lookback_scan_determinismE0ELb0ES3_N6thrust23THRUST_200600_302600_NS18transform_iteratorI9row_indexNS9_17counting_iteratorImNS9_11use_defaultESD_SD_EESD_SD_EENS9_6detail15normal_iteratorINS9_10device_ptrIiEEEESK_iNS9_4plusIvEENS9_8equal_toIvEEiEE10hipError_tPvRmT2_T3_T4_T5_mT6_T7_P12ihipStream_tbENKUlT_T0_E_clISt17integral_constantIbLb0EES14_IbLb1EEEEDaS10_S11_EUlS10_E_NS1_11comp_targetILNS1_3genE9ELNS1_11target_archE1100ELNS1_3gpuE3ELNS1_3repE0EEENS1_30default_config_static_selectorELNS0_4arch9wavefront6targetE0EEEvT1_.has_indirect_call, 0
	.section	.AMDGPU.csdata,"",@progbits
; Kernel info:
; codeLenInByte = 0
; TotalNumSgprs: 0
; NumVgprs: 0
; ScratchSize: 0
; MemoryBound: 0
; FloatMode: 240
; IeeeMode: 1
; LDSByteSize: 0 bytes/workgroup (compile time only)
; SGPRBlocks: 0
; VGPRBlocks: 0
; NumSGPRsForWavesPerEU: 1
; NumVGPRsForWavesPerEU: 1
; Occupancy: 16
; WaveLimiterHint : 0
; COMPUTE_PGM_RSRC2:SCRATCH_EN: 0
; COMPUTE_PGM_RSRC2:USER_SGPR: 6
; COMPUTE_PGM_RSRC2:TRAP_HANDLER: 0
; COMPUTE_PGM_RSRC2:TGID_X_EN: 1
; COMPUTE_PGM_RSRC2:TGID_Y_EN: 0
; COMPUTE_PGM_RSRC2:TGID_Z_EN: 0
; COMPUTE_PGM_RSRC2:TIDIG_COMP_CNT: 0
	.section	.text._ZN7rocprim17ROCPRIM_400000_NS6detail17trampoline_kernelINS0_14default_configENS1_27scan_by_key_config_selectorImiEEZZNS1_16scan_by_key_implILNS1_25lookback_scan_determinismE0ELb0ES3_N6thrust23THRUST_200600_302600_NS18transform_iteratorI9row_indexNS9_17counting_iteratorImNS9_11use_defaultESD_SD_EESD_SD_EENS9_6detail15normal_iteratorINS9_10device_ptrIiEEEESK_iNS9_4plusIvEENS9_8equal_toIvEEiEE10hipError_tPvRmT2_T3_T4_T5_mT6_T7_P12ihipStream_tbENKUlT_T0_E_clISt17integral_constantIbLb0EES14_IbLb1EEEEDaS10_S11_EUlS10_E_NS1_11comp_targetILNS1_3genE8ELNS1_11target_archE1030ELNS1_3gpuE2ELNS1_3repE0EEENS1_30default_config_static_selectorELNS0_4arch9wavefront6targetE0EEEvT1_,"axG",@progbits,_ZN7rocprim17ROCPRIM_400000_NS6detail17trampoline_kernelINS0_14default_configENS1_27scan_by_key_config_selectorImiEEZZNS1_16scan_by_key_implILNS1_25lookback_scan_determinismE0ELb0ES3_N6thrust23THRUST_200600_302600_NS18transform_iteratorI9row_indexNS9_17counting_iteratorImNS9_11use_defaultESD_SD_EESD_SD_EENS9_6detail15normal_iteratorINS9_10device_ptrIiEEEESK_iNS9_4plusIvEENS9_8equal_toIvEEiEE10hipError_tPvRmT2_T3_T4_T5_mT6_T7_P12ihipStream_tbENKUlT_T0_E_clISt17integral_constantIbLb0EES14_IbLb1EEEEDaS10_S11_EUlS10_E_NS1_11comp_targetILNS1_3genE8ELNS1_11target_archE1030ELNS1_3gpuE2ELNS1_3repE0EEENS1_30default_config_static_selectorELNS0_4arch9wavefront6targetE0EEEvT1_,comdat
	.protected	_ZN7rocprim17ROCPRIM_400000_NS6detail17trampoline_kernelINS0_14default_configENS1_27scan_by_key_config_selectorImiEEZZNS1_16scan_by_key_implILNS1_25lookback_scan_determinismE0ELb0ES3_N6thrust23THRUST_200600_302600_NS18transform_iteratorI9row_indexNS9_17counting_iteratorImNS9_11use_defaultESD_SD_EESD_SD_EENS9_6detail15normal_iteratorINS9_10device_ptrIiEEEESK_iNS9_4plusIvEENS9_8equal_toIvEEiEE10hipError_tPvRmT2_T3_T4_T5_mT6_T7_P12ihipStream_tbENKUlT_T0_E_clISt17integral_constantIbLb0EES14_IbLb1EEEEDaS10_S11_EUlS10_E_NS1_11comp_targetILNS1_3genE8ELNS1_11target_archE1030ELNS1_3gpuE2ELNS1_3repE0EEENS1_30default_config_static_selectorELNS0_4arch9wavefront6targetE0EEEvT1_ ; -- Begin function _ZN7rocprim17ROCPRIM_400000_NS6detail17trampoline_kernelINS0_14default_configENS1_27scan_by_key_config_selectorImiEEZZNS1_16scan_by_key_implILNS1_25lookback_scan_determinismE0ELb0ES3_N6thrust23THRUST_200600_302600_NS18transform_iteratorI9row_indexNS9_17counting_iteratorImNS9_11use_defaultESD_SD_EESD_SD_EENS9_6detail15normal_iteratorINS9_10device_ptrIiEEEESK_iNS9_4plusIvEENS9_8equal_toIvEEiEE10hipError_tPvRmT2_T3_T4_T5_mT6_T7_P12ihipStream_tbENKUlT_T0_E_clISt17integral_constantIbLb0EES14_IbLb1EEEEDaS10_S11_EUlS10_E_NS1_11comp_targetILNS1_3genE8ELNS1_11target_archE1030ELNS1_3gpuE2ELNS1_3repE0EEENS1_30default_config_static_selectorELNS0_4arch9wavefront6targetE0EEEvT1_
	.globl	_ZN7rocprim17ROCPRIM_400000_NS6detail17trampoline_kernelINS0_14default_configENS1_27scan_by_key_config_selectorImiEEZZNS1_16scan_by_key_implILNS1_25lookback_scan_determinismE0ELb0ES3_N6thrust23THRUST_200600_302600_NS18transform_iteratorI9row_indexNS9_17counting_iteratorImNS9_11use_defaultESD_SD_EESD_SD_EENS9_6detail15normal_iteratorINS9_10device_ptrIiEEEESK_iNS9_4plusIvEENS9_8equal_toIvEEiEE10hipError_tPvRmT2_T3_T4_T5_mT6_T7_P12ihipStream_tbENKUlT_T0_E_clISt17integral_constantIbLb0EES14_IbLb1EEEEDaS10_S11_EUlS10_E_NS1_11comp_targetILNS1_3genE8ELNS1_11target_archE1030ELNS1_3gpuE2ELNS1_3repE0EEENS1_30default_config_static_selectorELNS0_4arch9wavefront6targetE0EEEvT1_
	.p2align	8
	.type	_ZN7rocprim17ROCPRIM_400000_NS6detail17trampoline_kernelINS0_14default_configENS1_27scan_by_key_config_selectorImiEEZZNS1_16scan_by_key_implILNS1_25lookback_scan_determinismE0ELb0ES3_N6thrust23THRUST_200600_302600_NS18transform_iteratorI9row_indexNS9_17counting_iteratorImNS9_11use_defaultESD_SD_EESD_SD_EENS9_6detail15normal_iteratorINS9_10device_ptrIiEEEESK_iNS9_4plusIvEENS9_8equal_toIvEEiEE10hipError_tPvRmT2_T3_T4_T5_mT6_T7_P12ihipStream_tbENKUlT_T0_E_clISt17integral_constantIbLb0EES14_IbLb1EEEEDaS10_S11_EUlS10_E_NS1_11comp_targetILNS1_3genE8ELNS1_11target_archE1030ELNS1_3gpuE2ELNS1_3repE0EEENS1_30default_config_static_selectorELNS0_4arch9wavefront6targetE0EEEvT1_,@function
_ZN7rocprim17ROCPRIM_400000_NS6detail17trampoline_kernelINS0_14default_configENS1_27scan_by_key_config_selectorImiEEZZNS1_16scan_by_key_implILNS1_25lookback_scan_determinismE0ELb0ES3_N6thrust23THRUST_200600_302600_NS18transform_iteratorI9row_indexNS9_17counting_iteratorImNS9_11use_defaultESD_SD_EESD_SD_EENS9_6detail15normal_iteratorINS9_10device_ptrIiEEEESK_iNS9_4plusIvEENS9_8equal_toIvEEiEE10hipError_tPvRmT2_T3_T4_T5_mT6_T7_P12ihipStream_tbENKUlT_T0_E_clISt17integral_constantIbLb0EES14_IbLb1EEEEDaS10_S11_EUlS10_E_NS1_11comp_targetILNS1_3genE8ELNS1_11target_archE1030ELNS1_3gpuE2ELNS1_3repE0EEENS1_30default_config_static_selectorELNS0_4arch9wavefront6targetE0EEEvT1_: ; @_ZN7rocprim17ROCPRIM_400000_NS6detail17trampoline_kernelINS0_14default_configENS1_27scan_by_key_config_selectorImiEEZZNS1_16scan_by_key_implILNS1_25lookback_scan_determinismE0ELb0ES3_N6thrust23THRUST_200600_302600_NS18transform_iteratorI9row_indexNS9_17counting_iteratorImNS9_11use_defaultESD_SD_EESD_SD_EENS9_6detail15normal_iteratorINS9_10device_ptrIiEEEESK_iNS9_4plusIvEENS9_8equal_toIvEEiEE10hipError_tPvRmT2_T3_T4_T5_mT6_T7_P12ihipStream_tbENKUlT_T0_E_clISt17integral_constantIbLb0EES14_IbLb1EEEEDaS10_S11_EUlS10_E_NS1_11comp_targetILNS1_3genE8ELNS1_11target_archE1030ELNS1_3gpuE2ELNS1_3repE0EEENS1_30default_config_static_selectorELNS0_4arch9wavefront6targetE0EEEvT1_
; %bb.0:
	s_clause 0x5
	s_load_dwordx8 s[16:23], s[4:5], 0x0
	s_load_dwordx2 s[6:7], s[4:5], 0x20
	s_load_dwordx4 s[24:27], s[4:5], 0x30
	s_load_dwordx2 s[28:29], s[4:5], 0x40
	s_load_dwordx2 s[2:3], s[4:5], 0x70
	s_load_dwordx8 s[8:15], s[4:5], 0x50
	v_cmp_ne_u32_e64 s1, 0, v0
	v_cmp_eq_u32_e64 s0, 0, v0
	s_waitcnt lgkmcnt(0)
	s_and_saveexec_b32 s27, s0
	s_cbranch_execz .LBB44_4
; %bb.1:
	s_mov_b32 s31, exec_lo
	s_mov_b32 s30, exec_lo
	v_mbcnt_lo_u32_b32 v1, s31, 0
                                        ; implicit-def: $vgpr2
	v_cmpx_eq_u32_e32 0, v1
	s_cbranch_execz .LBB44_3
; %bb.2:
	s_bcnt1_i32_b32 s31, s31
	v_mov_b32_e32 v2, 0
	v_mov_b32_e32 v3, s31
	global_atomic_add v2, v2, v3, s[2:3] glc
.LBB44_3:
	s_or_b32 exec_lo, exec_lo, s30
	s_waitcnt vmcnt(0)
	v_readfirstlane_b32 s2, v2
	v_mov_b32_e32 v2, 0
	v_add_nc_u32_e32 v1, s2, v1
	ds_write_b32 v2, v1
.LBB44_4:
	s_or_b32 exec_lo, exec_lo, s27
	v_mov_b32_e32 v1, 0
	s_waitcnt lgkmcnt(0)
	s_barrier
	buffer_gl0_inv
	s_load_dword s4, s[4:5], 0x48
	ds_read_b32 v1, v1
	s_add_u32 s5, s20, s16
	s_addc_u32 s30, s21, s17
	s_lshl_b64 s[16:17], s[20:21], 2
	s_mov_b32 s3, 0
	s_add_u32 s22, s22, s16
	s_addc_u32 s23, s23, s17
	s_waitcnt lgkmcnt(0)
	s_barrier
	buffer_gl0_inv
	s_barrier
	buffer_gl0_inv
	s_mul_i32 s2, s29, s4
	v_readfirstlane_b32 s36, v1
	s_mul_hi_u32 s27, s28, s4
	s_add_i32 s27, s27, s2
	s_cmp_lg_u64 s[12:13], 0
	s_mul_i32 s2, s36, 0x300
	s_cselect_b32 s39, -1, 0
	s_add_u32 s20, s5, s2
	s_addc_u32 s21, s30, 0
	s_lshl_b64 s[12:13], s[2:3], 2
	s_mul_i32 s2, s28, s4
	s_add_u32 s37, s22, s12
	s_addc_u32 s38, s23, s13
	s_add_u32 s22, s2, s36
	s_addc_u32 s23, s27, 0
	s_add_u32 s4, s8, -1
	s_addc_u32 s5, s9, -1
	s_mul_i32 s33, s4, 0xfffffd00
	v_cmp_ge_u64_e64 s27, s[22:23], s[4:5]
	s_and_b32 vcc_lo, exec_lo, s27
	s_cbranch_vccz .LBB44_29
; %bb.5:
	s_or_b64 s[2:3], s[20:21], s[18:19]
	s_mov_b32 s2, 0
	s_cmp_lg_u64 s[2:3], 0
	s_cbranch_scc0 .LBB44_30
; %bb.6:
	v_cvt_f32_u32_e32 v1, s18
	v_cvt_f32_u32_e32 v2, s19
	s_sub_u32 s5, 0, s18
	s_subb_u32 s8, 0, s19
	v_fmamk_f32 v1, v2, 0x4f800000, v1
	v_rcp_f32_e32 v1, v1
	v_mul_f32_e32 v1, 0x5f7ffffc, v1
	v_mul_f32_e32 v2, 0x2f800000, v1
	v_trunc_f32_e32 v2, v2
	v_fmamk_f32 v1, v2, 0xcf800000, v1
	v_cvt_u32_f32_e32 v2, v2
	v_cvt_u32_f32_e32 v1, v1
	v_readfirstlane_b32 s3, v2
	v_readfirstlane_b32 s4, v1
	s_mul_i32 s9, s5, s3
	s_mul_hi_u32 s31, s5, s4
	s_mul_i32 s30, s8, s4
	s_add_i32 s9, s31, s9
	s_mul_i32 s34, s5, s4
	s_add_i32 s9, s9, s30
	s_mul_hi_u32 s31, s4, s34
	s_mul_i32 s40, s4, s9
	s_mul_hi_u32 s35, s3, s34
	s_mul_i32 s30, s3, s34
	s_mul_hi_u32 s34, s4, s9
	s_add_u32 s31, s31, s40
	s_addc_u32 s34, 0, s34
	s_mul_hi_u32 s41, s3, s9
	s_add_u32 s30, s31, s30
	s_mul_i32 s9, s3, s9
	s_addc_u32 s30, s34, s35
	s_addc_u32 s31, s41, 0
	s_add_u32 s9, s30, s9
	s_addc_u32 s30, 0, s31
	s_add_u32 s4, s4, s9
	s_cselect_b32 s9, -1, 0
	s_mul_hi_u32 s31, s5, s4
	s_cmp_lg_u32 s9, 0
	s_mul_i32 s9, s5, s4
	s_addc_u32 s3, s3, s30
	s_mul_i32 s8, s8, s4
	s_mul_i32 s5, s5, s3
	s_mul_hi_u32 s30, s4, s9
	s_add_i32 s5, s31, s5
	s_mul_hi_u32 s31, s3, s9
	s_add_i32 s5, s5, s8
	s_mul_i32 s8, s3, s9
	s_mul_i32 s35, s4, s5
	s_mul_hi_u32 s34, s4, s5
	s_add_u32 s30, s30, s35
	s_addc_u32 s34, 0, s34
	s_mul_hi_u32 s9, s3, s5
	s_add_u32 s8, s30, s8
	s_mul_i32 s5, s3, s5
	s_addc_u32 s8, s34, s31
	s_addc_u32 s9, s9, 0
	s_add_u32 s5, s8, s5
	s_addc_u32 s8, 0, s9
	s_add_u32 s4, s4, s5
	s_cselect_b32 s5, -1, 0
	s_mul_hi_u32 s9, s20, s4
	s_cmp_lg_u32 s5, 0
	s_mul_hi_u32 s5, s21, s4
	s_addc_u32 s3, s3, s8
	s_mul_i32 s4, s21, s4
	s_mul_i32 s30, s20, s3
	s_mul_hi_u32 s8, s20, s3
	s_add_u32 s9, s9, s30
	s_addc_u32 s8, 0, s8
	s_mul_hi_u32 s31, s21, s3
	s_add_u32 s4, s9, s4
	s_mul_i32 s3, s21, s3
	s_addc_u32 s4, s8, s5
	s_addc_u32 s5, s31, 0
	s_add_u32 s3, s4, s3
	s_addc_u32 s4, 0, s5
	s_mul_hi_u32 s5, s18, s3
	s_mul_i32 s8, s18, s4
	s_mul_i32 s9, s19, s3
	s_add_i32 s5, s5, s8
	s_mul_i32 s8, s18, s3
	s_add_i32 s5, s5, s9
	s_sub_i32 s9, s21, s5
	s_sub_u32 s8, s20, s8
	s_cselect_b32 s30, -1, 0
	s_cmp_lg_u32 s30, 0
	s_subb_u32 s9, s9, s19
	s_sub_u32 s31, s8, s18
	s_cselect_b32 s34, -1, 0
	s_cmp_lg_u32 s34, 0
	s_subb_u32 s9, s9, 0
	s_cmp_ge_u32 s9, s19
	s_cselect_b32 s34, -1, 0
	s_cmp_ge_u32 s31, s18
	s_cselect_b32 s31, -1, 0
	s_cmp_eq_u32 s9, s19
	s_cselect_b32 s9, s31, s34
	s_add_u32 s31, s3, 1
	s_addc_u32 s34, s4, 0
	s_add_u32 s35, s3, 2
	s_addc_u32 s40, s4, 0
	s_cmp_lg_u32 s9, 0
	s_cselect_b32 s31, s35, s31
	s_cselect_b32 s9, s40, s34
	s_cmp_lg_u32 s30, 0
	s_subb_u32 s5, s21, s5
	s_cmp_ge_u32 s5, s19
	s_cselect_b32 s30, -1, 0
	s_cmp_ge_u32 s8, s18
	s_cselect_b32 s8, -1, 0
	s_cmp_eq_u32 s5, s19
	s_cselect_b32 s5, s8, s30
	s_cmp_lg_u32 s5, 0
	s_cselect_b32 s9, s9, s4
	s_cselect_b32 s8, s31, s3
	s_andn2_b32 vcc_lo, exec_lo, s2
	s_cbranch_vccnz .LBB44_8
.LBB44_7:
	v_cvt_f32_u32_e32 v1, s18
	s_sub_i32 s3, 0, s18
	s_mov_b32 s9, 0
	v_rcp_iflag_f32_e32 v1, v1
	v_mul_f32_e32 v1, 0x4f7ffffe, v1
	v_cvt_u32_f32_e32 v1, v1
	v_readfirstlane_b32 s2, v1
	s_mul_i32 s3, s3, s2
	s_mul_hi_u32 s3, s2, s3
	s_add_i32 s2, s2, s3
	s_mul_hi_u32 s2, s20, s2
	s_mul_i32 s3, s2, s18
	s_add_i32 s4, s2, 1
	s_sub_i32 s3, s20, s3
	s_sub_i32 s5, s3, s18
	s_cmp_ge_u32 s3, s18
	s_cselect_b32 s2, s4, s2
	s_cselect_b32 s3, s5, s3
	s_add_i32 s4, s2, 1
	s_cmp_ge_u32 s3, s18
	s_cselect_b32 s8, s4, s2
.LBB44_8:
	s_add_i32 s40, s33, s26
	v_mov_b32_e32 v1, s8
	v_cmp_gt_u32_e64 s2, s40, v0
	v_mov_b32_e32 v2, s9
	s_and_saveexec_b32 s4, s2
	s_cbranch_execz .LBB44_14
; %bb.9:
	v_add_co_u32 v3, s3, s20, v0
	v_add_co_ci_u32_e64 v4, null, s21, 0, s3
	v_mov_b32_e32 v1, 0
	v_or_b32_e32 v2, s19, v4
	v_cmp_ne_u64_e32 vcc_lo, 0, v[1:2]
                                        ; implicit-def: $vgpr1_vgpr2
	s_and_saveexec_b32 s3, vcc_lo
	s_xor_b32 s5, exec_lo, s3
	s_cbranch_execz .LBB44_11
; %bb.10:
	v_cvt_f32_u32_e32 v1, s18
	v_cvt_f32_u32_e32 v2, s19
	s_sub_u32 s31, 0, s18
	s_subb_u32 s34, 0, s19
	v_fmamk_f32 v1, v2, 0x4f800000, v1
	v_rcp_f32_e32 v1, v1
	v_mul_f32_e32 v1, 0x5f7ffffc, v1
	v_mul_f32_e32 v2, 0x2f800000, v1
	v_trunc_f32_e32 v2, v2
	v_fmamk_f32 v1, v2, 0xcf800000, v1
	v_cvt_u32_f32_e32 v2, v2
	v_cvt_u32_f32_e32 v1, v1
	v_readfirstlane_b32 s3, v2
	v_readfirstlane_b32 s30, v1
	s_mul_i32 s35, s31, s3
	s_mul_hi_u32 s42, s31, s30
	s_mul_i32 s41, s34, s30
	s_add_i32 s35, s42, s35
	s_mul_i32 s43, s31, s30
	s_add_i32 s35, s35, s41
	s_mul_hi_u32 s42, s30, s43
	s_mul_i32 s45, s30, s35
	s_mul_hi_u32 s44, s3, s43
	s_mul_i32 s41, s3, s43
	s_mul_hi_u32 s43, s30, s35
	s_add_u32 s42, s42, s45
	s_addc_u32 s43, 0, s43
	s_mul_hi_u32 s46, s3, s35
	s_add_u32 s41, s42, s41
	s_mul_i32 s35, s3, s35
	s_addc_u32 s41, s43, s44
	s_addc_u32 s42, s46, 0
	s_add_u32 s35, s41, s35
	s_addc_u32 s41, 0, s42
	s_add_u32 s30, s30, s35
	s_cselect_b32 s35, -1, 0
	s_mul_hi_u32 s42, s31, s30
	s_cmp_lg_u32 s35, 0
	s_mul_i32 s35, s31, s30
	s_addc_u32 s3, s3, s41
	s_mul_i32 s34, s34, s30
	s_mul_i32 s31, s31, s3
	s_mul_hi_u32 s41, s30, s35
	s_add_i32 s31, s42, s31
	s_mul_hi_u32 s42, s3, s35
	s_add_i32 s31, s31, s34
	s_mul_i32 s34, s3, s35
	s_mul_i32 s44, s30, s31
	s_mul_hi_u32 s43, s30, s31
	s_add_u32 s41, s41, s44
	s_addc_u32 s43, 0, s43
	s_mul_hi_u32 s35, s3, s31
	s_add_u32 s34, s41, s34
	s_mul_i32 s31, s3, s31
	s_addc_u32 s34, s43, s42
	s_addc_u32 s35, s35, 0
	s_add_u32 s31, s34, s31
	s_addc_u32 s34, 0, s35
	s_add_u32 s30, s30, s31
	s_cselect_b32 s31, -1, 0
	v_mul_hi_u32 v9, v3, s30
	s_cmp_lg_u32 s31, 0
	v_mad_u64_u32 v[5:6], null, v4, s30, 0
	s_addc_u32 s3, s3, s34
	v_mad_u64_u32 v[1:2], null, v3, s3, 0
	v_mad_u64_u32 v[7:8], null, v4, s3, 0
	v_add_co_u32 v1, vcc_lo, v9, v1
	v_add_co_ci_u32_e64 v2, null, 0, v2, vcc_lo
	v_add_co_u32 v1, vcc_lo, v1, v5
	v_add_co_ci_u32_e32 v1, vcc_lo, v2, v6, vcc_lo
	v_add_co_ci_u32_e32 v2, vcc_lo, 0, v8, vcc_lo
	v_add_co_u32 v5, vcc_lo, v1, v7
	v_add_co_ci_u32_e64 v6, null, 0, v2, vcc_lo
	v_mul_lo_u32 v7, s19, v5
	v_mad_u64_u32 v[1:2], null, s18, v5, 0
	v_mul_lo_u32 v8, s18, v6
	v_sub_co_u32 v1, vcc_lo, v3, v1
	v_add3_u32 v2, v2, v8, v7
	v_sub_nc_u32_e32 v7, v4, v2
	v_sub_co_ci_u32_e64 v2, null, v4, v2, vcc_lo
	v_subrev_co_ci_u32_e64 v3, null, s19, v7, vcc_lo
	v_add_co_u32 v7, s3, v5, 2
	v_add_co_ci_u32_e64 v8, null, 0, v6, s3
	v_sub_co_u32 v9, s3, v1, s18
	v_subrev_co_ci_u32_e64 v3, null, 0, v3, s3
	v_cmp_eq_u32_e64 s3, s19, v2
	v_cmp_le_u32_e32 vcc_lo, s18, v9
	v_cndmask_b32_e64 v4, 0, -1, vcc_lo
	v_cmp_le_u32_e32 vcc_lo, s19, v3
	v_cndmask_b32_e64 v9, 0, -1, vcc_lo
	;; [unrolled: 2-line block ×4, first 2 shown]
	v_cmp_eq_u32_e32 vcc_lo, s19, v3
	v_cndmask_b32_e64 v1, v10, v1, s3
	v_cndmask_b32_e32 v3, v9, v4, vcc_lo
	v_add_co_u32 v4, vcc_lo, v5, 1
	v_add_co_ci_u32_e64 v9, null, 0, v6, vcc_lo
	v_cmp_ne_u32_e32 vcc_lo, 0, v3
	v_cndmask_b32_e32 v2, v9, v8, vcc_lo
	v_cndmask_b32_e32 v3, v4, v7, vcc_lo
	v_cmp_ne_u32_e32 vcc_lo, 0, v1
	v_cndmask_b32_e32 v2, v6, v2, vcc_lo
	v_cndmask_b32_e32 v1, v5, v3, vcc_lo
                                        ; implicit-def: $vgpr3
.LBB44_11:
	s_andn2_saveexec_b32 s3, s5
	s_cbranch_execz .LBB44_13
; %bb.12:
	v_cvt_f32_u32_e32 v1, s18
	s_sub_i32 s5, 0, s18
	v_rcp_iflag_f32_e32 v1, v1
	v_mul_f32_e32 v1, 0x4f7ffffe, v1
	v_cvt_u32_f32_e32 v1, v1
	v_mul_lo_u32 v2, s5, v1
	v_mul_hi_u32 v2, v1, v2
	v_add_nc_u32_e32 v1, v1, v2
	v_mul_hi_u32 v1, v3, v1
	v_mul_lo_u32 v2, v1, s18
	v_sub_nc_u32_e32 v2, v3, v2
	v_add_nc_u32_e32 v3, 1, v1
	v_subrev_nc_u32_e32 v4, s18, v2
	v_cmp_le_u32_e32 vcc_lo, s18, v2
	v_cndmask_b32_e32 v2, v2, v4, vcc_lo
	v_cndmask_b32_e32 v1, v1, v3, vcc_lo
	v_cmp_le_u32_e32 vcc_lo, s18, v2
	v_add_nc_u32_e32 v3, 1, v1
	v_mov_b32_e32 v2, 0
	v_cndmask_b32_e32 v1, v1, v3, vcc_lo
.LBB44_13:
	s_or_b32 exec_lo, exec_lo, s3
.LBB44_14:
	s_or_b32 exec_lo, exec_lo, s4
	v_or_b32_e32 v5, 0x100, v0
	v_mov_b32_e32 v3, s8
	v_mov_b32_e32 v4, s9
	v_cmp_gt_u32_e64 s3, s40, v5
	s_and_saveexec_b32 s5, s3
	s_cbranch_execz .LBB44_20
; %bb.15:
	v_add_co_u32 v5, s4, s20, v5
	v_add_co_ci_u32_e64 v6, null, s21, 0, s4
	v_mov_b32_e32 v3, 0
	v_or_b32_e32 v4, s19, v6
	v_cmp_ne_u64_e32 vcc_lo, 0, v[3:4]
                                        ; implicit-def: $vgpr3_vgpr4
	s_and_saveexec_b32 s4, vcc_lo
	s_xor_b32 s30, exec_lo, s4
	s_cbranch_execz .LBB44_17
; %bb.16:
	v_cvt_f32_u32_e32 v3, s18
	v_cvt_f32_u32_e32 v4, s19
	s_sub_u32 s34, 0, s18
	s_subb_u32 s35, 0, s19
	v_fmamk_f32 v3, v4, 0x4f800000, v3
	v_rcp_f32_e32 v3, v3
	v_mul_f32_e32 v3, 0x5f7ffffc, v3
	v_mul_f32_e32 v4, 0x2f800000, v3
	v_trunc_f32_e32 v4, v4
	v_fmamk_f32 v3, v4, 0xcf800000, v3
	v_cvt_u32_f32_e32 v4, v4
	v_cvt_u32_f32_e32 v3, v3
	v_readfirstlane_b32 s4, v4
	v_readfirstlane_b32 s31, v3
	s_mul_i32 s41, s34, s4
	s_mul_hi_u32 s43, s34, s31
	s_mul_i32 s42, s35, s31
	s_add_i32 s41, s43, s41
	s_mul_i32 s44, s34, s31
	s_add_i32 s41, s41, s42
	s_mul_hi_u32 s43, s31, s44
	s_mul_i32 s46, s31, s41
	s_mul_hi_u32 s45, s4, s44
	s_mul_i32 s42, s4, s44
	s_mul_hi_u32 s44, s31, s41
	s_add_u32 s43, s43, s46
	s_addc_u32 s44, 0, s44
	s_mul_hi_u32 s47, s4, s41
	s_add_u32 s42, s43, s42
	s_mul_i32 s41, s4, s41
	s_addc_u32 s42, s44, s45
	s_addc_u32 s43, s47, 0
	s_add_u32 s41, s42, s41
	s_addc_u32 s42, 0, s43
	s_add_u32 s31, s31, s41
	s_cselect_b32 s41, -1, 0
	s_mul_hi_u32 s43, s34, s31
	s_cmp_lg_u32 s41, 0
	s_mul_i32 s41, s34, s31
	s_addc_u32 s4, s4, s42
	s_mul_i32 s35, s35, s31
	s_mul_i32 s34, s34, s4
	s_mul_hi_u32 s42, s31, s41
	s_add_i32 s34, s43, s34
	s_mul_hi_u32 s43, s4, s41
	s_add_i32 s34, s34, s35
	s_mul_i32 s35, s4, s41
	s_mul_i32 s45, s31, s34
	s_mul_hi_u32 s44, s31, s34
	s_add_u32 s42, s42, s45
	s_addc_u32 s44, 0, s44
	s_mul_hi_u32 s41, s4, s34
	s_add_u32 s35, s42, s35
	s_mul_i32 s34, s4, s34
	s_addc_u32 s35, s44, s43
	s_addc_u32 s41, s41, 0
	s_add_u32 s34, s35, s34
	s_addc_u32 s35, 0, s41
	s_add_u32 s31, s31, s34
	s_cselect_b32 s34, -1, 0
	v_mul_hi_u32 v11, v5, s31
	s_cmp_lg_u32 s34, 0
	v_mad_u64_u32 v[7:8], null, v6, s31, 0
	s_addc_u32 s4, s4, s35
	v_mad_u64_u32 v[3:4], null, v5, s4, 0
	v_mad_u64_u32 v[9:10], null, v6, s4, 0
	v_add_co_u32 v3, vcc_lo, v11, v3
	v_add_co_ci_u32_e64 v4, null, 0, v4, vcc_lo
	v_add_co_u32 v3, vcc_lo, v3, v7
	v_add_co_ci_u32_e32 v3, vcc_lo, v4, v8, vcc_lo
	v_add_co_ci_u32_e32 v4, vcc_lo, 0, v10, vcc_lo
	v_add_co_u32 v7, vcc_lo, v3, v9
	v_add_co_ci_u32_e64 v8, null, 0, v4, vcc_lo
	v_mul_lo_u32 v9, s19, v7
	v_mad_u64_u32 v[3:4], null, s18, v7, 0
	v_mul_lo_u32 v10, s18, v8
	v_sub_co_u32 v3, vcc_lo, v5, v3
	v_add3_u32 v4, v4, v10, v9
	v_sub_nc_u32_e32 v9, v6, v4
	v_sub_co_ci_u32_e64 v4, null, v6, v4, vcc_lo
	v_subrev_co_ci_u32_e64 v5, null, s19, v9, vcc_lo
	v_add_co_u32 v9, s4, v7, 2
	v_add_co_ci_u32_e64 v10, null, 0, v8, s4
	v_sub_co_u32 v11, s4, v3, s18
	v_subrev_co_ci_u32_e64 v5, null, 0, v5, s4
	v_cmp_eq_u32_e64 s4, s19, v4
	v_cmp_le_u32_e32 vcc_lo, s18, v11
	v_cndmask_b32_e64 v6, 0, -1, vcc_lo
	v_cmp_le_u32_e32 vcc_lo, s19, v5
	v_cndmask_b32_e64 v11, 0, -1, vcc_lo
	;; [unrolled: 2-line block ×4, first 2 shown]
	v_cmp_eq_u32_e32 vcc_lo, s19, v5
	v_cndmask_b32_e64 v3, v12, v3, s4
	v_cndmask_b32_e32 v5, v11, v6, vcc_lo
	v_add_co_u32 v6, vcc_lo, v7, 1
	v_add_co_ci_u32_e64 v11, null, 0, v8, vcc_lo
	v_cmp_ne_u32_e32 vcc_lo, 0, v5
	v_cndmask_b32_e32 v4, v11, v10, vcc_lo
	v_cndmask_b32_e32 v5, v6, v9, vcc_lo
	v_cmp_ne_u32_e32 vcc_lo, 0, v3
	v_cndmask_b32_e32 v4, v8, v4, vcc_lo
	v_cndmask_b32_e32 v3, v7, v5, vcc_lo
                                        ; implicit-def: $vgpr5
.LBB44_17:
	s_andn2_saveexec_b32 s4, s30
	s_cbranch_execz .LBB44_19
; %bb.18:
	v_cvt_f32_u32_e32 v3, s18
	s_sub_i32 s30, 0, s18
	v_rcp_iflag_f32_e32 v3, v3
	v_mul_f32_e32 v3, 0x4f7ffffe, v3
	v_cvt_u32_f32_e32 v3, v3
	v_mul_lo_u32 v4, s30, v3
	v_mul_hi_u32 v4, v3, v4
	v_add_nc_u32_e32 v3, v3, v4
	v_mul_hi_u32 v3, v5, v3
	v_mul_lo_u32 v4, v3, s18
	v_sub_nc_u32_e32 v4, v5, v4
	v_add_nc_u32_e32 v5, 1, v3
	v_subrev_nc_u32_e32 v6, s18, v4
	v_cmp_le_u32_e32 vcc_lo, s18, v4
	v_cndmask_b32_e32 v4, v4, v6, vcc_lo
	v_cndmask_b32_e32 v3, v3, v5, vcc_lo
	v_cmp_le_u32_e32 vcc_lo, s18, v4
	v_add_nc_u32_e32 v5, 1, v3
	v_mov_b32_e32 v4, 0
	v_cndmask_b32_e32 v3, v3, v5, vcc_lo
.LBB44_19:
	s_or_b32 exec_lo, exec_lo, s4
.LBB44_20:
	s_or_b32 exec_lo, exec_lo, s5
	v_or_b32_e32 v8, 0x200, v0
	v_mov_b32_e32 v5, s8
	v_mov_b32_e32 v6, s9
	v_cmp_gt_u32_e64 s4, s40, v8
	s_and_saveexec_b32 s30, s4
	s_cbranch_execz .LBB44_26
; %bb.21:
	v_add_co_u32 v7, s5, s20, v8
	v_add_co_ci_u32_e64 v9, null, s21, 0, s5
	v_mov_b32_e32 v5, 0
	v_or_b32_e32 v6, s19, v9
	v_cmp_ne_u64_e32 vcc_lo, 0, v[5:6]
                                        ; implicit-def: $vgpr5_vgpr6
	s_and_saveexec_b32 s5, vcc_lo
	s_xor_b32 s31, exec_lo, s5
	s_cbranch_execz .LBB44_23
; %bb.22:
	v_cvt_f32_u32_e32 v5, s18
	v_cvt_f32_u32_e32 v6, s19
	s_sub_u32 s35, 0, s18
	s_subb_u32 s41, 0, s19
	v_fmamk_f32 v5, v6, 0x4f800000, v5
	v_rcp_f32_e32 v5, v5
	v_mul_f32_e32 v5, 0x5f7ffffc, v5
	v_mul_f32_e32 v6, 0x2f800000, v5
	v_trunc_f32_e32 v6, v6
	v_fmamk_f32 v5, v6, 0xcf800000, v5
	v_cvt_u32_f32_e32 v6, v6
	v_cvt_u32_f32_e32 v5, v5
	v_readfirstlane_b32 s5, v6
	v_readfirstlane_b32 s34, v5
	s_mul_i32 s42, s35, s5
	s_mul_hi_u32 s44, s35, s34
	s_mul_i32 s43, s41, s34
	s_add_i32 s42, s44, s42
	s_mul_i32 s45, s35, s34
	s_add_i32 s42, s42, s43
	s_mul_hi_u32 s44, s34, s45
	s_mul_i32 s47, s34, s42
	s_mul_hi_u32 s46, s5, s45
	s_mul_i32 s43, s5, s45
	s_mul_hi_u32 s45, s34, s42
	s_add_u32 s44, s44, s47
	s_addc_u32 s45, 0, s45
	s_mul_hi_u32 s48, s5, s42
	s_add_u32 s43, s44, s43
	s_mul_i32 s42, s5, s42
	s_addc_u32 s43, s45, s46
	s_addc_u32 s44, s48, 0
	s_add_u32 s42, s43, s42
	s_addc_u32 s43, 0, s44
	s_add_u32 s34, s34, s42
	s_cselect_b32 s42, -1, 0
	s_mul_hi_u32 s44, s35, s34
	s_cmp_lg_u32 s42, 0
	s_mul_i32 s42, s35, s34
	s_addc_u32 s5, s5, s43
	s_mul_i32 s41, s41, s34
	s_mul_i32 s35, s35, s5
	s_mul_hi_u32 s43, s34, s42
	s_add_i32 s35, s44, s35
	s_mul_hi_u32 s44, s5, s42
	s_add_i32 s35, s35, s41
	s_mul_i32 s41, s5, s42
	s_mul_i32 s46, s34, s35
	s_mul_hi_u32 s45, s34, s35
	s_add_u32 s43, s43, s46
	s_addc_u32 s45, 0, s45
	s_mul_hi_u32 s42, s5, s35
	s_add_u32 s41, s43, s41
	s_mul_i32 s35, s5, s35
	s_addc_u32 s41, s45, s44
	s_addc_u32 s42, s42, 0
	s_add_u32 s35, s41, s35
	s_addc_u32 s41, 0, s42
	s_add_u32 s34, s34, s35
	s_cselect_b32 s35, -1, 0
	v_mul_hi_u32 v14, v7, s34
	s_cmp_lg_u32 s35, 0
	v_mad_u64_u32 v[10:11], null, v9, s34, 0
	s_addc_u32 s5, s5, s41
	v_mad_u64_u32 v[5:6], null, v7, s5, 0
	v_mad_u64_u32 v[12:13], null, v9, s5, 0
	v_add_co_u32 v5, vcc_lo, v14, v5
	v_add_co_ci_u32_e64 v6, null, 0, v6, vcc_lo
	v_add_co_u32 v5, vcc_lo, v5, v10
	v_add_co_ci_u32_e32 v5, vcc_lo, v6, v11, vcc_lo
	v_add_co_ci_u32_e32 v6, vcc_lo, 0, v13, vcc_lo
	v_add_co_u32 v10, vcc_lo, v5, v12
	v_add_co_ci_u32_e64 v11, null, 0, v6, vcc_lo
	v_mul_lo_u32 v12, s19, v10
	v_mad_u64_u32 v[5:6], null, s18, v10, 0
	v_mul_lo_u32 v13, s18, v11
	v_sub_co_u32 v5, vcc_lo, v7, v5
	v_add3_u32 v6, v6, v13, v12
	v_sub_nc_u32_e32 v12, v9, v6
	v_sub_co_ci_u32_e64 v6, null, v9, v6, vcc_lo
	v_subrev_co_ci_u32_e64 v7, null, s19, v12, vcc_lo
	v_add_co_u32 v12, s5, v10, 2
	v_add_co_ci_u32_e64 v13, null, 0, v11, s5
	v_sub_co_u32 v14, s5, v5, s18
	v_subrev_co_ci_u32_e64 v7, null, 0, v7, s5
	v_cmp_eq_u32_e64 s5, s19, v6
	v_cmp_le_u32_e32 vcc_lo, s18, v14
	v_cndmask_b32_e64 v9, 0, -1, vcc_lo
	v_cmp_le_u32_e32 vcc_lo, s19, v7
	v_cndmask_b32_e64 v14, 0, -1, vcc_lo
	;; [unrolled: 2-line block ×4, first 2 shown]
	v_cmp_eq_u32_e32 vcc_lo, s19, v7
	v_cndmask_b32_e64 v5, v15, v5, s5
	v_cndmask_b32_e32 v7, v14, v9, vcc_lo
	v_add_co_u32 v9, vcc_lo, v10, 1
	v_add_co_ci_u32_e64 v14, null, 0, v11, vcc_lo
	v_cmp_ne_u32_e32 vcc_lo, 0, v7
	v_cndmask_b32_e32 v6, v14, v13, vcc_lo
	v_cndmask_b32_e32 v7, v9, v12, vcc_lo
	v_cmp_ne_u32_e32 vcc_lo, 0, v5
	v_cndmask_b32_e32 v6, v11, v6, vcc_lo
	v_cndmask_b32_e32 v5, v10, v7, vcc_lo
                                        ; implicit-def: $vgpr7
.LBB44_23:
	s_andn2_saveexec_b32 s5, s31
	s_cbranch_execz .LBB44_25
; %bb.24:
	v_cvt_f32_u32_e32 v5, s18
	s_sub_i32 s31, 0, s18
	v_rcp_iflag_f32_e32 v5, v5
	v_mul_f32_e32 v5, 0x4f7ffffe, v5
	v_cvt_u32_f32_e32 v5, v5
	v_mul_lo_u32 v6, s31, v5
	v_mul_hi_u32 v6, v5, v6
	v_add_nc_u32_e32 v5, v5, v6
	v_mul_hi_u32 v5, v7, v5
	v_mul_lo_u32 v6, v5, s18
	v_sub_nc_u32_e32 v6, v7, v6
	v_add_nc_u32_e32 v7, 1, v5
	v_subrev_nc_u32_e32 v9, s18, v6
	v_cmp_le_u32_e32 vcc_lo, s18, v6
	v_cndmask_b32_e32 v6, v6, v9, vcc_lo
	v_cndmask_b32_e32 v5, v5, v7, vcc_lo
	v_cmp_le_u32_e32 vcc_lo, s18, v6
	v_add_nc_u32_e32 v7, 1, v5
	v_mov_b32_e32 v6, 0
	v_cndmask_b32_e32 v5, v5, v7, vcc_lo
.LBB44_25:
	s_or_b32 exec_lo, exec_lo, s5
.LBB44_26:
	s_or_b32 exec_lo, exec_lo, s30
	v_lshlrev_b32_e32 v17, 3, v0
	v_lshlrev_b32_e32 v7, 4, v0
	s_cmp_eq_u64 s[22:23], 0
	ds_write2st64_b64 v17, v[1:2], v[3:4] offset1:4
	v_add_nc_u32_e32 v9, v17, v7
	ds_write_b64 v17, v[5:6] offset:4096
	s_waitcnt lgkmcnt(0)
	s_barrier
	buffer_gl0_inv
	ds_read2_b64 v[1:4], v9 offset1:1
	ds_read_b64 v[13:14], v9 offset:16
	s_cbranch_scc1 .LBB44_35
; %bb.27:
	s_andn2_b32 vcc_lo, exec_lo, s39
	s_cbranch_vccnz .LBB44_31
; %bb.28:
	s_lshl_b64 s[8:9], s[22:23], 3
	s_add_u32 s5, s14, s8
	s_addc_u32 s9, s15, s9
	s_add_u32 s8, s5, -8
	s_addc_u32 s9, s9, -1
	s_load_dwordx2 s[8:9], s[8:9], 0x0
	s_cbranch_execz .LBB44_32
	s_branch .LBB44_35
.LBB44_29:
                                        ; implicit-def: $sgpr4
                                        ; implicit-def: $vgpr7
                                        ; implicit-def: $vgpr9_vgpr10
                                        ; implicit-def: $vgpr11_vgpr12
	s_cbranch_execnz .LBB44_46
	s_branch .LBB44_75
.LBB44_30:
                                        ; implicit-def: $sgpr8_sgpr9
	s_branch .LBB44_7
.LBB44_31:
                                        ; implicit-def: $sgpr8_sgpr9
.LBB44_32:
	s_add_u32 s30, s20, -1
	s_addc_u32 s31, s21, -1
	s_or_b64 s[34:35], s[30:31], s[18:19]
	s_mov_b32 s34, 0
	s_cmp_lg_u64 s[34:35], 0
	s_cbranch_scc0 .LBB44_146
; %bb.33:
	v_cvt_f32_u32_e32 v5, s18
	v_cvt_f32_u32_e32 v6, s19
	s_waitcnt lgkmcnt(0)
	s_sub_u32 s9, 0, s18
	s_subb_u32 s35, 0, s19
	v_fmamk_f32 v5, v6, 0x4f800000, v5
	v_rcp_f32_e32 v5, v5
	v_mul_f32_e32 v5, 0x5f7ffffc, v5
	v_mul_f32_e32 v6, 0x2f800000, v5
	v_trunc_f32_e32 v6, v6
	v_fmamk_f32 v5, v6, 0xcf800000, v5
	v_cvt_u32_f32_e32 v6, v6
	v_cvt_u32_f32_e32 v5, v5
	v_readfirstlane_b32 s5, v6
	v_readfirstlane_b32 s8, v5
	s_mul_i32 s41, s9, s5
	s_mul_hi_u32 s43, s9, s8
	s_mul_i32 s42, s35, s8
	s_add_i32 s41, s43, s41
	s_mul_i32 s44, s9, s8
	s_add_i32 s41, s41, s42
	s_mul_hi_u32 s43, s8, s44
	s_mul_i32 s46, s8, s41
	s_mul_hi_u32 s45, s5, s44
	s_mul_i32 s42, s5, s44
	s_mul_hi_u32 s44, s8, s41
	s_add_u32 s43, s43, s46
	s_addc_u32 s44, 0, s44
	s_mul_hi_u32 s47, s5, s41
	s_add_u32 s42, s43, s42
	s_mul_i32 s41, s5, s41
	s_addc_u32 s42, s44, s45
	s_addc_u32 s43, s47, 0
	s_add_u32 s41, s42, s41
	s_addc_u32 s42, 0, s43
	s_add_u32 s8, s8, s41
	s_cselect_b32 s41, -1, 0
	s_mul_hi_u32 s43, s9, s8
	s_cmp_lg_u32 s41, 0
	s_mul_i32 s41, s9, s8
	s_addc_u32 s5, s5, s42
	s_mul_i32 s35, s35, s8
	s_mul_i32 s9, s9, s5
	s_mul_hi_u32 s42, s8, s41
	s_add_i32 s9, s43, s9
	s_mul_hi_u32 s43, s5, s41
	s_add_i32 s9, s9, s35
	s_mul_i32 s35, s5, s41
	s_mul_i32 s45, s8, s9
	s_mul_hi_u32 s44, s8, s9
	s_add_u32 s42, s42, s45
	s_addc_u32 s44, 0, s44
	s_mul_hi_u32 s41, s5, s9
	s_add_u32 s35, s42, s35
	s_mul_i32 s9, s5, s9
	s_addc_u32 s35, s44, s43
	s_addc_u32 s41, s41, 0
	s_add_u32 s9, s35, s9
	s_addc_u32 s35, 0, s41
	s_add_u32 s8, s8, s9
	s_cselect_b32 s9, -1, 0
	s_mul_hi_u32 s41, s30, s8
	s_cmp_lg_u32 s9, 0
	s_mul_hi_u32 s9, s31, s8
	s_addc_u32 s5, s5, s35
	s_mul_i32 s8, s31, s8
	s_mul_i32 s42, s30, s5
	s_mul_hi_u32 s35, s30, s5
	s_add_u32 s41, s41, s42
	s_addc_u32 s35, 0, s35
	s_mul_hi_u32 s43, s31, s5
	s_add_u32 s8, s41, s8
	s_mul_i32 s5, s31, s5
	s_addc_u32 s8, s35, s9
	s_addc_u32 s9, s43, 0
	s_add_u32 s5, s8, s5
	s_addc_u32 s8, 0, s9
	s_mul_hi_u32 s9, s18, s5
	s_mul_i32 s35, s18, s8
	s_mul_i32 s41, s19, s5
	s_add_i32 s9, s9, s35
	s_mul_i32 s35, s18, s5
	s_add_i32 s9, s9, s41
	s_sub_i32 s41, s31, s9
	s_sub_u32 s35, s30, s35
	s_cselect_b32 s42, -1, 0
	s_cmp_lg_u32 s42, 0
	s_subb_u32 s41, s41, s19
	s_sub_u32 s43, s35, s18
	s_cselect_b32 s44, -1, 0
	s_cmp_lg_u32 s44, 0
	s_subb_u32 s41, s41, 0
	s_cmp_ge_u32 s41, s19
	s_cselect_b32 s44, -1, 0
	s_cmp_ge_u32 s43, s18
	s_cselect_b32 s43, -1, 0
	s_cmp_eq_u32 s41, s19
	s_cselect_b32 s41, s43, s44
	s_add_u32 s43, s5, 1
	s_addc_u32 s44, s8, 0
	s_add_u32 s45, s5, 2
	s_addc_u32 s46, s8, 0
	s_cmp_lg_u32 s41, 0
	s_cselect_b32 s41, s45, s43
	s_cselect_b32 s43, s46, s44
	s_cmp_lg_u32 s42, 0
	s_subb_u32 s9, s31, s9
	s_cmp_ge_u32 s9, s19
	s_cselect_b32 s31, -1, 0
	s_cmp_ge_u32 s35, s18
	s_cselect_b32 s35, -1, 0
	s_cmp_eq_u32 s9, s19
	s_cselect_b32 s9, s35, s31
	s_cmp_lg_u32 s9, 0
	s_cselect_b32 s9, s43, s8
	s_cselect_b32 s8, s41, s5
	s_andn2_b32 vcc_lo, exec_lo, s34
	s_cbranch_vccnz .LBB44_35
.LBB44_34:
	v_cvt_f32_u32_e32 v5, s18
	s_waitcnt lgkmcnt(0)
	s_sub_i32 s8, 0, s18
	v_rcp_iflag_f32_e32 v5, v5
	v_mul_f32_e32 v5, 0x4f7ffffe, v5
	v_cvt_u32_f32_e32 v5, v5
	v_readfirstlane_b32 s5, v5
	s_mul_i32 s8, s8, s5
	s_mul_hi_u32 s8, s5, s8
	s_add_i32 s5, s5, s8
	s_mul_hi_u32 s5, s30, s5
	s_mul_i32 s8, s5, s18
	s_add_i32 s9, s5, 1
	s_sub_i32 s8, s30, s8
	s_sub_i32 s30, s8, s18
	s_cmp_ge_u32 s8, s18
	s_cselect_b32 s5, s9, s5
	s_cselect_b32 s8, s30, s8
	s_add_i32 s30, s5, 1
	s_cmp_ge_u32 s8, s18
	s_mov_b32 s9, 0
	s_cselect_b32 s8, s30, s5
.LBB44_35:
	s_waitcnt lgkmcnt(0)
	v_mov_b32_e32 v16, s9
	v_sub_nc_u32_e32 v9, v9, v7
	v_mov_b32_e32 v15, s8
	ds_write_b64 v9, v[13:14] offset:6144
	s_waitcnt lgkmcnt(0)
	s_barrier
	buffer_gl0_inv
	s_and_saveexec_b32 s5, s1
; %bb.36:
	ds_read_b64 v[15:16], v9 offset:6136
; %bb.37:
	s_or_b32 exec_lo, exec_lo, s5
	v_mov_b32_e32 v5, 0
	s_waitcnt lgkmcnt(0)
	s_barrier
	buffer_gl0_inv
	v_mov_b32_e32 v6, v5
	v_mov_b32_e32 v7, v5
	s_and_saveexec_b32 s5, s2
	s_cbranch_execnz .LBB44_61
; %bb.38:
	s_or_b32 exec_lo, exec_lo, s5
	s_and_saveexec_b32 s2, s3
	s_cbranch_execnz .LBB44_62
.LBB44_39:
	s_or_b32 exec_lo, exec_lo, s2
	s_and_saveexec_b32 s2, s4
	s_cbranch_execz .LBB44_41
.LBB44_40:
	v_lshlrev_b32_e32 v7, 2, v8
	v_add_co_u32 v7, s3, s37, v7
	v_add_co_ci_u32_e64 v8, null, s38, 0, s3
	flat_load_dword v7, v[7:8]
.LBB44_41:
	s_or_b32 exec_lo, exec_lo, s2
	v_lshlrev_b32_e32 v10, 2, v0
	v_mov_b32_e32 v11, 0
	v_mul_u32_u24_e32 v8, 3, v0
	v_mov_b32_e32 v12, 0
	s_mov_b32 s5, 0
	v_sub_nc_u32_e32 v18, v9, v10
	v_mov_b32_e32 v9, 0
	v_mov_b32_e32 v10, 0
	s_mov_b32 s3, 0
	s_mov_b32 s8, exec_lo
	s_waitcnt vmcnt(0) lgkmcnt(0)
	ds_write2st64_b32 v18, v5, v6 offset1:4
	ds_write_b32 v18, v7 offset:2048
	s_waitcnt lgkmcnt(0)
	s_barrier
	buffer_gl0_inv
                                        ; implicit-def: $sgpr4
                                        ; implicit-def: $vgpr7
	v_cmpx_gt_u32_e64 s40, v8
	s_cbranch_execz .LBB44_45
; %bb.42:
	v_add_nc_u32_e32 v5, v18, v17
	v_cmp_ne_u64_e32 vcc_lo, v[15:16], v[1:2]
	v_mov_b32_e32 v11, 0
	v_add_nc_u32_e32 v6, 1, v8
	v_mov_b32_e32 v12, 0
	ds_read_b32 v9, v5
	s_mov_b32 s2, 0
	v_cndmask_b32_e64 v10, 0, 1, vcc_lo
	s_mov_b32 s3, exec_lo
                                        ; implicit-def: $sgpr4
                                        ; implicit-def: $vgpr7
	v_cmpx_gt_u32_e64 s40, v6
	s_xor_b32 s3, exec_lo, s3
	s_cbranch_execz .LBB44_44
; %bb.43:
	ds_read2_b32 v[6:7], v5 offset0:1 offset1:2
	v_add_nc_u32_e32 v5, 2, v8
	v_cmp_ne_u64_e64 s2, v[1:2], v[3:4]
	v_cmp_ne_u64_e64 s4, v[3:4], v[13:14]
	v_cmp_gt_u32_e32 vcc_lo, s40, v5
	v_cndmask_b32_e64 v12, 0, 1, s2
	s_and_b32 s2, vcc_lo, exec_lo
	s_waitcnt lgkmcnt(0)
	v_mov_b32_e32 v11, v6
.LBB44_44:
	s_or_b32 exec_lo, exec_lo, s3
	s_and_b32 s3, s2, exec_lo
.LBB44_45:
	s_or_b32 exec_lo, exec_lo, s8
	s_and_b32 vcc_lo, exec_lo, s5
	s_cbranch_vccz .LBB44_75
.LBB44_46:
	v_add_co_u32 v5, s2, s20, v0
	v_add_co_ci_u32_e64 v6, null, s21, 0, s2
	v_mov_b32_e32 v1, 0
	v_or_b32_e32 v2, s19, v6
	v_cmp_ne_u64_e32 vcc_lo, 0, v[1:2]
                                        ; implicit-def: $vgpr1_vgpr2
	s_and_saveexec_b32 s2, vcc_lo
	s_xor_b32 s3, exec_lo, s2
	s_cbranch_execz .LBB44_48
; %bb.47:
	v_cvt_f32_u32_e32 v1, s18
	v_cvt_f32_u32_e32 v2, s19
	s_sub_u32 s5, 0, s18
	s_subb_u32 s8, 0, s19
	v_fmamk_f32 v1, v2, 0x4f800000, v1
	v_rcp_f32_e32 v1, v1
	v_mul_f32_e32 v1, 0x5f7ffffc, v1
	v_mul_f32_e32 v2, 0x2f800000, v1
	v_trunc_f32_e32 v2, v2
	v_fmamk_f32 v1, v2, 0xcf800000, v1
	v_cvt_u32_f32_e32 v2, v2
	v_cvt_u32_f32_e32 v1, v1
	v_readfirstlane_b32 s2, v2
	v_readfirstlane_b32 s4, v1
	s_mul_i32 s9, s5, s2
	s_mul_hi_u32 s31, s5, s4
	s_mul_i32 s30, s8, s4
	s_add_i32 s9, s31, s9
	s_mul_i32 s34, s5, s4
	s_add_i32 s9, s9, s30
	s_mul_hi_u32 s31, s4, s34
	s_mul_i32 s40, s4, s9
	s_mul_hi_u32 s35, s2, s34
	s_mul_i32 s30, s2, s34
	s_mul_hi_u32 s34, s4, s9
	s_add_u32 s31, s31, s40
	s_addc_u32 s34, 0, s34
	s_mul_hi_u32 s41, s2, s9
	s_add_u32 s30, s31, s30
	s_mul_i32 s9, s2, s9
	s_addc_u32 s30, s34, s35
	s_addc_u32 s31, s41, 0
	s_add_u32 s9, s30, s9
	s_addc_u32 s30, 0, s31
	s_add_u32 s4, s4, s9
	s_cselect_b32 s9, -1, 0
	s_mul_hi_u32 s31, s5, s4
	s_cmp_lg_u32 s9, 0
	s_mul_i32 s9, s5, s4
	s_addc_u32 s2, s2, s30
	s_mul_i32 s8, s8, s4
	s_mul_i32 s5, s5, s2
	s_mul_hi_u32 s30, s4, s9
	s_add_i32 s5, s31, s5
	s_mul_hi_u32 s31, s2, s9
	s_add_i32 s5, s5, s8
	s_mul_i32 s8, s2, s9
	s_mul_i32 s35, s4, s5
	s_mul_hi_u32 s34, s4, s5
	s_add_u32 s30, s30, s35
	s_addc_u32 s34, 0, s34
	s_mul_hi_u32 s9, s2, s5
	s_add_u32 s8, s30, s8
	s_mul_i32 s5, s2, s5
	s_addc_u32 s8, s34, s31
	s_addc_u32 s9, s9, 0
	s_add_u32 s5, s8, s5
	s_addc_u32 s8, 0, s9
	s_add_u32 s4, s4, s5
	s_cselect_b32 s5, -1, 0
	s_waitcnt lgkmcnt(0)
	v_mul_hi_u32 v9, v5, s4
	s_cmp_lg_u32 s5, 0
	v_mad_u64_u32 v[3:4], null, v6, s4, 0
	s_addc_u32 s2, s2, s8
	v_mad_u64_u32 v[1:2], null, v5, s2, 0
	v_mad_u64_u32 v[7:8], null, v6, s2, 0
	v_add_co_u32 v1, vcc_lo, v9, v1
	v_add_co_ci_u32_e64 v2, null, 0, v2, vcc_lo
	v_add_co_u32 v1, vcc_lo, v1, v3
	v_add_co_ci_u32_e32 v1, vcc_lo, v2, v4, vcc_lo
	v_add_co_ci_u32_e32 v2, vcc_lo, 0, v8, vcc_lo
	v_add_co_u32 v3, vcc_lo, v1, v7
	v_add_co_ci_u32_e64 v4, null, 0, v2, vcc_lo
	v_mul_lo_u32 v7, s19, v3
	v_mad_u64_u32 v[1:2], null, s18, v3, 0
	v_mul_lo_u32 v8, s18, v4
	v_sub_co_u32 v1, vcc_lo, v5, v1
	v_add3_u32 v2, v2, v8, v7
	v_add_co_u32 v8, s2, v3, 2
	v_add_co_ci_u32_e64 v9, null, 0, v4, s2
	v_sub_nc_u32_e32 v7, v6, v2
	v_sub_co_u32 v10, s2, v1, s18
	v_sub_co_ci_u32_e64 v2, null, v6, v2, vcc_lo
	v_subrev_co_ci_u32_e64 v7, null, s19, v7, vcc_lo
	v_cmp_le_u32_e32 vcc_lo, s18, v10
	v_subrev_co_ci_u32_e64 v7, null, 0, v7, s2
	v_cndmask_b32_e64 v10, 0, -1, vcc_lo
	v_cmp_eq_u32_e64 s2, s19, v2
	v_cmp_le_u32_e32 vcc_lo, s19, v7
	v_cndmask_b32_e64 v11, 0, -1, vcc_lo
	v_cmp_le_u32_e32 vcc_lo, s18, v1
	v_cndmask_b32_e64 v1, 0, -1, vcc_lo
	;; [unrolled: 2-line block ×3, first 2 shown]
	v_cmp_eq_u32_e32 vcc_lo, s19, v7
	v_cndmask_b32_e64 v1, v12, v1, s2
	v_cndmask_b32_e32 v7, v11, v10, vcc_lo
	v_add_co_u32 v10, vcc_lo, v3, 1
	v_add_co_ci_u32_e64 v11, null, 0, v4, vcc_lo
	v_cmp_ne_u32_e32 vcc_lo, 0, v7
	v_cndmask_b32_e32 v2, v11, v9, vcc_lo
	v_cndmask_b32_e32 v7, v10, v8, vcc_lo
	v_cmp_ne_u32_e32 vcc_lo, 0, v1
	v_cndmask_b32_e32 v2, v4, v2, vcc_lo
	v_cndmask_b32_e32 v1, v3, v7, vcc_lo
.LBB44_48:
	s_andn2_saveexec_b32 s2, s3
	s_cbranch_execz .LBB44_50
; %bb.49:
	v_cvt_f32_u32_e32 v1, s18
	s_sub_i32 s3, 0, s18
	v_rcp_iflag_f32_e32 v1, v1
	v_mul_f32_e32 v1, 0x4f7ffffe, v1
	v_cvt_u32_f32_e32 v1, v1
	v_mul_lo_u32 v2, s3, v1
	v_mul_hi_u32 v2, v1, v2
	v_add_nc_u32_e32 v1, v1, v2
	v_mul_hi_u32 v1, v5, v1
	v_mul_lo_u32 v2, v1, s18
	v_add_nc_u32_e32 v3, 1, v1
	v_sub_nc_u32_e32 v2, v5, v2
	v_subrev_nc_u32_e32 v4, s18, v2
	v_cmp_le_u32_e32 vcc_lo, s18, v2
	v_cndmask_b32_e32 v2, v2, v4, vcc_lo
	v_cndmask_b32_e32 v1, v1, v3, vcc_lo
	v_cmp_le_u32_e32 vcc_lo, s18, v2
	v_add_nc_u32_e32 v3, 1, v1
	v_mov_b32_e32 v2, 0
	v_cndmask_b32_e32 v1, v1, v3, vcc_lo
.LBB44_50:
	s_or_b32 exec_lo, exec_lo, s2
	v_add_co_u32 v7, vcc_lo, 0x100, v5
	v_add_co_ci_u32_e64 v8, null, 0, v6, vcc_lo
	v_mov_b32_e32 v3, 0
	v_or_b32_e32 v4, s19, v8
	v_cmp_ne_u64_e32 vcc_lo, 0, v[3:4]
                                        ; implicit-def: $vgpr3_vgpr4
	s_and_saveexec_b32 s2, vcc_lo
	s_xor_b32 s3, exec_lo, s2
	s_cbranch_execz .LBB44_52
; %bb.51:
	v_cvt_f32_u32_e32 v3, s18
	v_cvt_f32_u32_e32 v4, s19
	s_sub_u32 s5, 0, s18
	s_subb_u32 s8, 0, s19
	v_fmamk_f32 v3, v4, 0x4f800000, v3
	v_rcp_f32_e32 v3, v3
	v_mul_f32_e32 v3, 0x5f7ffffc, v3
	v_mul_f32_e32 v4, 0x2f800000, v3
	v_trunc_f32_e32 v4, v4
	v_fmamk_f32 v3, v4, 0xcf800000, v3
	v_cvt_u32_f32_e32 v4, v4
	v_cvt_u32_f32_e32 v3, v3
	v_readfirstlane_b32 s2, v4
	v_readfirstlane_b32 s4, v3
	s_mul_i32 s9, s5, s2
	s_mul_hi_u32 s31, s5, s4
	s_mul_i32 s30, s8, s4
	s_add_i32 s9, s31, s9
	s_mul_i32 s34, s5, s4
	s_add_i32 s9, s9, s30
	s_mul_hi_u32 s31, s4, s34
	s_mul_i32 s40, s4, s9
	s_mul_hi_u32 s35, s2, s34
	s_mul_i32 s30, s2, s34
	s_mul_hi_u32 s34, s4, s9
	s_add_u32 s31, s31, s40
	s_addc_u32 s34, 0, s34
	s_mul_hi_u32 s41, s2, s9
	s_add_u32 s30, s31, s30
	s_mul_i32 s9, s2, s9
	s_addc_u32 s30, s34, s35
	s_addc_u32 s31, s41, 0
	s_add_u32 s9, s30, s9
	s_addc_u32 s30, 0, s31
	s_add_u32 s4, s4, s9
	s_cselect_b32 s9, -1, 0
	s_mul_hi_u32 s31, s5, s4
	s_cmp_lg_u32 s9, 0
	s_mul_i32 s9, s5, s4
	s_addc_u32 s2, s2, s30
	s_mul_i32 s8, s8, s4
	s_mul_i32 s5, s5, s2
	s_mul_hi_u32 s30, s4, s9
	s_add_i32 s5, s31, s5
	s_mul_hi_u32 s31, s2, s9
	s_add_i32 s5, s5, s8
	s_mul_i32 s8, s2, s9
	s_mul_i32 s35, s4, s5
	s_mul_hi_u32 s34, s4, s5
	s_add_u32 s30, s30, s35
	s_addc_u32 s34, 0, s34
	s_mul_hi_u32 s9, s2, s5
	s_add_u32 s8, s30, s8
	s_mul_i32 s5, s2, s5
	s_addc_u32 s8, s34, s31
	s_addc_u32 s9, s9, 0
	s_add_u32 s5, s8, s5
	s_addc_u32 s8, 0, s9
	s_add_u32 s4, s4, s5
	s_cselect_b32 s5, -1, 0
	v_mul_hi_u32 v13, v7, s4
	s_cmp_lg_u32 s5, 0
	s_waitcnt lgkmcnt(0)
	v_mad_u64_u32 v[9:10], null, v8, s4, 0
	s_addc_u32 s2, s2, s8
	v_mad_u64_u32 v[3:4], null, v7, s2, 0
	v_mad_u64_u32 v[11:12], null, v8, s2, 0
	v_add_co_u32 v3, vcc_lo, v13, v3
	v_add_co_ci_u32_e64 v4, null, 0, v4, vcc_lo
	v_add_co_u32 v3, vcc_lo, v3, v9
	v_add_co_ci_u32_e32 v3, vcc_lo, v4, v10, vcc_lo
	v_add_co_ci_u32_e32 v4, vcc_lo, 0, v12, vcc_lo
	v_add_co_u32 v9, vcc_lo, v3, v11
	v_add_co_ci_u32_e64 v10, null, 0, v4, vcc_lo
	v_mul_lo_u32 v11, s19, v9
	v_mad_u64_u32 v[3:4], null, s18, v9, 0
	v_mul_lo_u32 v12, s18, v10
	v_sub_co_u32 v3, vcc_lo, v7, v3
	v_add3_u32 v4, v4, v12, v11
	v_sub_nc_u32_e32 v11, v8, v4
	v_sub_co_ci_u32_e64 v4, null, v8, v4, vcc_lo
	v_subrev_co_ci_u32_e64 v7, null, s19, v11, vcc_lo
	v_add_co_u32 v11, s2, v9, 2
	v_add_co_ci_u32_e64 v12, null, 0, v10, s2
	v_sub_co_u32 v13, s2, v3, s18
	v_subrev_co_ci_u32_e64 v7, null, 0, v7, s2
	v_cmp_eq_u32_e64 s2, s19, v4
	v_cmp_le_u32_e32 vcc_lo, s18, v13
	v_cndmask_b32_e64 v8, 0, -1, vcc_lo
	v_cmp_le_u32_e32 vcc_lo, s19, v7
	v_cndmask_b32_e64 v13, 0, -1, vcc_lo
	;; [unrolled: 2-line block ×4, first 2 shown]
	v_cmp_eq_u32_e32 vcc_lo, s19, v7
	v_cndmask_b32_e64 v3, v14, v3, s2
	v_cndmask_b32_e32 v7, v13, v8, vcc_lo
	v_add_co_u32 v8, vcc_lo, v9, 1
	v_add_co_ci_u32_e64 v13, null, 0, v10, vcc_lo
	v_cmp_ne_u32_e32 vcc_lo, 0, v7
	v_cndmask_b32_e32 v4, v13, v12, vcc_lo
	v_cndmask_b32_e32 v7, v8, v11, vcc_lo
	v_cmp_ne_u32_e32 vcc_lo, 0, v3
	v_cndmask_b32_e32 v4, v10, v4, vcc_lo
	v_cndmask_b32_e32 v3, v9, v7, vcc_lo
                                        ; implicit-def: $vgpr7
.LBB44_52:
	s_andn2_saveexec_b32 s2, s3
	s_cbranch_execz .LBB44_54
; %bb.53:
	v_cvt_f32_u32_e32 v3, s18
	s_sub_i32 s3, 0, s18
	v_rcp_iflag_f32_e32 v3, v3
	v_mul_f32_e32 v3, 0x4f7ffffe, v3
	v_cvt_u32_f32_e32 v3, v3
	v_mul_lo_u32 v4, s3, v3
	v_mul_hi_u32 v4, v3, v4
	v_add_nc_u32_e32 v3, v3, v4
	v_mul_hi_u32 v3, v7, v3
	v_mul_lo_u32 v4, v3, s18
	v_sub_nc_u32_e32 v4, v7, v4
	v_add_nc_u32_e32 v7, 1, v3
	v_subrev_nc_u32_e32 v8, s18, v4
	v_cmp_le_u32_e32 vcc_lo, s18, v4
	v_cndmask_b32_e32 v4, v4, v8, vcc_lo
	v_cndmask_b32_e32 v3, v3, v7, vcc_lo
	v_cmp_le_u32_e32 vcc_lo, s18, v4
	v_add_nc_u32_e32 v7, 1, v3
	v_mov_b32_e32 v4, 0
	v_cndmask_b32_e32 v3, v3, v7, vcc_lo
.LBB44_54:
	s_or_b32 exec_lo, exec_lo, s2
	v_add_co_u32 v7, vcc_lo, 0x200, v5
	v_add_co_ci_u32_e64 v8, null, 0, v6, vcc_lo
	v_mov_b32_e32 v5, 0
	v_or_b32_e32 v6, s19, v8
	v_cmp_ne_u64_e32 vcc_lo, 0, v[5:6]
                                        ; implicit-def: $vgpr5_vgpr6
	s_and_saveexec_b32 s2, vcc_lo
	s_xor_b32 s3, exec_lo, s2
	s_cbranch_execz .LBB44_56
; %bb.55:
	v_cvt_f32_u32_e32 v5, s18
	v_cvt_f32_u32_e32 v6, s19
	s_sub_u32 s5, 0, s18
	s_subb_u32 s8, 0, s19
	v_fmamk_f32 v5, v6, 0x4f800000, v5
	v_rcp_f32_e32 v5, v5
	v_mul_f32_e32 v5, 0x5f7ffffc, v5
	v_mul_f32_e32 v6, 0x2f800000, v5
	v_trunc_f32_e32 v6, v6
	v_fmamk_f32 v5, v6, 0xcf800000, v5
	v_cvt_u32_f32_e32 v6, v6
	v_cvt_u32_f32_e32 v5, v5
	v_readfirstlane_b32 s2, v6
	v_readfirstlane_b32 s4, v5
	s_mul_i32 s9, s5, s2
	s_mul_hi_u32 s31, s5, s4
	s_mul_i32 s30, s8, s4
	s_add_i32 s9, s31, s9
	s_mul_i32 s34, s5, s4
	s_add_i32 s9, s9, s30
	s_mul_hi_u32 s31, s4, s34
	s_mul_i32 s40, s4, s9
	s_mul_hi_u32 s35, s2, s34
	s_mul_i32 s30, s2, s34
	s_mul_hi_u32 s34, s4, s9
	s_add_u32 s31, s31, s40
	s_addc_u32 s34, 0, s34
	s_mul_hi_u32 s41, s2, s9
	s_add_u32 s30, s31, s30
	s_mul_i32 s9, s2, s9
	s_addc_u32 s30, s34, s35
	s_addc_u32 s31, s41, 0
	s_add_u32 s9, s30, s9
	s_addc_u32 s30, 0, s31
	s_add_u32 s4, s4, s9
	s_cselect_b32 s9, -1, 0
	s_mul_hi_u32 s31, s5, s4
	s_cmp_lg_u32 s9, 0
	s_mul_i32 s9, s5, s4
	s_addc_u32 s2, s2, s30
	s_mul_i32 s8, s8, s4
	s_mul_i32 s5, s5, s2
	s_mul_hi_u32 s30, s4, s9
	s_add_i32 s5, s31, s5
	s_mul_hi_u32 s31, s2, s9
	s_add_i32 s5, s5, s8
	s_mul_i32 s8, s2, s9
	s_mul_i32 s35, s4, s5
	s_mul_hi_u32 s34, s4, s5
	s_add_u32 s30, s30, s35
	s_addc_u32 s34, 0, s34
	s_mul_hi_u32 s9, s2, s5
	s_add_u32 s8, s30, s8
	s_mul_i32 s5, s2, s5
	s_addc_u32 s8, s34, s31
	s_addc_u32 s9, s9, 0
	s_add_u32 s5, s8, s5
	s_addc_u32 s8, 0, s9
	s_add_u32 s4, s4, s5
	s_cselect_b32 s5, -1, 0
	v_mul_hi_u32 v13, v7, s4
	s_cmp_lg_u32 s5, 0
	s_waitcnt lgkmcnt(0)
	v_mad_u64_u32 v[9:10], null, v8, s4, 0
	s_addc_u32 s2, s2, s8
	v_mad_u64_u32 v[5:6], null, v7, s2, 0
	v_mad_u64_u32 v[11:12], null, v8, s2, 0
	v_add_co_u32 v5, vcc_lo, v13, v5
	v_add_co_ci_u32_e64 v6, null, 0, v6, vcc_lo
	v_add_co_u32 v5, vcc_lo, v5, v9
	v_add_co_ci_u32_e32 v5, vcc_lo, v6, v10, vcc_lo
	v_add_co_ci_u32_e32 v6, vcc_lo, 0, v12, vcc_lo
	v_add_co_u32 v9, vcc_lo, v5, v11
	v_add_co_ci_u32_e64 v10, null, 0, v6, vcc_lo
	v_mul_lo_u32 v11, s19, v9
	v_mad_u64_u32 v[5:6], null, s18, v9, 0
	v_mul_lo_u32 v12, s18, v10
	v_sub_co_u32 v5, vcc_lo, v7, v5
	v_add3_u32 v6, v6, v12, v11
	v_sub_nc_u32_e32 v11, v8, v6
	v_sub_co_ci_u32_e64 v6, null, v8, v6, vcc_lo
	v_subrev_co_ci_u32_e64 v7, null, s19, v11, vcc_lo
	v_add_co_u32 v11, s2, v9, 2
	v_add_co_ci_u32_e64 v12, null, 0, v10, s2
	v_sub_co_u32 v13, s2, v5, s18
	v_subrev_co_ci_u32_e64 v7, null, 0, v7, s2
	v_cmp_eq_u32_e64 s2, s19, v6
	v_cmp_le_u32_e32 vcc_lo, s18, v13
	v_cndmask_b32_e64 v8, 0, -1, vcc_lo
	v_cmp_le_u32_e32 vcc_lo, s19, v7
	v_cndmask_b32_e64 v13, 0, -1, vcc_lo
	;; [unrolled: 2-line block ×4, first 2 shown]
	v_cmp_eq_u32_e32 vcc_lo, s19, v7
	v_cndmask_b32_e64 v5, v14, v5, s2
	v_cndmask_b32_e32 v7, v13, v8, vcc_lo
	v_add_co_u32 v8, vcc_lo, v9, 1
	v_add_co_ci_u32_e64 v13, null, 0, v10, vcc_lo
	v_cmp_ne_u32_e32 vcc_lo, 0, v7
	v_cndmask_b32_e32 v6, v13, v12, vcc_lo
	v_cndmask_b32_e32 v7, v8, v11, vcc_lo
	v_cmp_ne_u32_e32 vcc_lo, 0, v5
	v_cndmask_b32_e32 v6, v10, v6, vcc_lo
	v_cndmask_b32_e32 v5, v9, v7, vcc_lo
                                        ; implicit-def: $vgpr7
.LBB44_56:
	s_andn2_saveexec_b32 s2, s3
	s_cbranch_execz .LBB44_58
; %bb.57:
	v_cvt_f32_u32_e32 v5, s18
	s_sub_i32 s3, 0, s18
	v_rcp_iflag_f32_e32 v5, v5
	v_mul_f32_e32 v5, 0x4f7ffffe, v5
	v_cvt_u32_f32_e32 v5, v5
	v_mul_lo_u32 v6, s3, v5
	v_mul_hi_u32 v6, v5, v6
	v_add_nc_u32_e32 v5, v5, v6
	v_mul_hi_u32 v5, v7, v5
	v_mul_lo_u32 v6, v5, s18
	v_sub_nc_u32_e32 v6, v7, v6
	v_add_nc_u32_e32 v7, 1, v5
	v_subrev_nc_u32_e32 v8, s18, v6
	v_cmp_le_u32_e32 vcc_lo, s18, v6
	v_cndmask_b32_e32 v6, v6, v8, vcc_lo
	v_cndmask_b32_e32 v5, v5, v7, vcc_lo
	v_cmp_le_u32_e32 vcc_lo, s18, v6
	v_add_nc_u32_e32 v7, 1, v5
	v_mov_b32_e32 v6, 0
	v_cndmask_b32_e32 v5, v5, v7, vcc_lo
.LBB44_58:
	s_or_b32 exec_lo, exec_lo, s2
	s_waitcnt lgkmcnt(0)
	v_lshlrev_b32_e32 v9, 3, v0
	v_lshlrev_b32_e32 v7, 4, v0
	s_cmp_eq_u64 s[22:23], 0
	ds_write2st64_b64 v9, v[1:2], v[3:4] offset1:4
	v_add_nc_u32_e32 v8, v9, v7
	ds_write_b64 v9, v[5:6] offset:4096
	s_waitcnt lgkmcnt(0)
	s_barrier
	buffer_gl0_inv
	ds_read2_b64 v[1:4], v8 offset1:1
	ds_read_b64 v[5:6], v8 offset:16
	s_cbranch_scc1 .LBB44_63
; %bb.59:
	s_andn2_b32 vcc_lo, exec_lo, s39
	s_cbranch_vccnz .LBB44_64
; %bb.60:
	s_lshl_b64 s[2:3], s[22:23], 3
	s_add_u32 s2, s14, s2
	s_addc_u32 s3, s15, s3
	s_add_u32 s2, s2, -8
	s_addc_u32 s3, s3, -1
	s_load_dwordx2 s[8:9], s[2:3], 0x0
	s_cbranch_execz .LBB44_65
	s_branch .LBB44_68
.LBB44_61:
	v_lshlrev_b32_e32 v6, 2, v0
	v_mov_b32_e32 v11, v5
	v_mov_b32_e32 v12, v5
	v_add_co_u32 v6, s2, s37, v6
	v_add_co_ci_u32_e64 v7, null, s38, 0, s2
	flat_load_dword v10, v[6:7]
	s_waitcnt vmcnt(0) lgkmcnt(0)
	v_mov_b32_e32 v5, v10
	v_mov_b32_e32 v6, v11
	;; [unrolled: 1-line block ×3, first 2 shown]
	s_or_b32 exec_lo, exec_lo, s5
	s_and_saveexec_b32 s2, s3
	s_cbranch_execz .LBB44_39
.LBB44_62:
	v_lshlrev_b32_e32 v6, 2, v0
	v_add_co_u32 v10, s3, s37, v6
	v_add_co_ci_u32_e64 v11, null, s38, 0, s3
	flat_load_dword v6, v[10:11] offset:1024
	s_or_b32 exec_lo, exec_lo, s2
	s_and_saveexec_b32 s2, s4
	s_cbranch_execnz .LBB44_40
	s_branch .LBB44_41
.LBB44_63:
                                        ; implicit-def: $sgpr8_sgpr9
	s_branch .LBB44_69
.LBB44_64:
                                        ; implicit-def: $sgpr8_sgpr9
.LBB44_65:
	s_add_u32 s2, s20, -1
	s_addc_u32 s3, s21, -1
	s_or_b64 s[4:5], s[2:3], s[18:19]
	s_mov_b32 s4, 0
	s_cmp_lg_u64 s[4:5], 0
	s_cbranch_scc0 .LBB44_147
; %bb.66:
	v_cvt_f32_u32_e32 v9, s18
	v_cvt_f32_u32_e32 v10, s19
	s_waitcnt lgkmcnt(0)
	s_sub_u32 s9, 0, s18
	s_subb_u32 s14, 0, s19
	v_fmamk_f32 v9, v10, 0x4f800000, v9
	v_rcp_f32_e32 v9, v9
	v_mul_f32_e32 v9, 0x5f7ffffc, v9
	v_mul_f32_e32 v10, 0x2f800000, v9
	v_trunc_f32_e32 v10, v10
	v_fmamk_f32 v9, v10, 0xcf800000, v9
	v_cvt_u32_f32_e32 v10, v10
	v_cvt_u32_f32_e32 v9, v9
	v_readfirstlane_b32 s5, v10
	v_readfirstlane_b32 s8, v9
	s_mul_i32 s15, s9, s5
	s_mul_hi_u32 s23, s9, s8
	s_mul_i32 s22, s14, s8
	s_add_i32 s15, s23, s15
	s_mul_i32 s30, s9, s8
	s_add_i32 s15, s15, s22
	s_mul_hi_u32 s23, s8, s30
	s_mul_i32 s34, s8, s15
	s_mul_hi_u32 s31, s5, s30
	s_mul_i32 s22, s5, s30
	s_mul_hi_u32 s30, s8, s15
	s_add_u32 s23, s23, s34
	s_addc_u32 s30, 0, s30
	s_mul_hi_u32 s35, s5, s15
	s_add_u32 s22, s23, s22
	s_mul_i32 s15, s5, s15
	s_addc_u32 s22, s30, s31
	s_addc_u32 s23, s35, 0
	s_add_u32 s15, s22, s15
	s_addc_u32 s22, 0, s23
	s_add_u32 s8, s8, s15
	s_cselect_b32 s15, -1, 0
	s_mul_hi_u32 s23, s9, s8
	s_cmp_lg_u32 s15, 0
	s_mul_i32 s15, s9, s8
	s_addc_u32 s5, s5, s22
	s_mul_i32 s14, s14, s8
	s_mul_i32 s9, s9, s5
	s_mul_hi_u32 s22, s8, s15
	s_add_i32 s9, s23, s9
	s_mul_hi_u32 s23, s5, s15
	s_add_i32 s9, s9, s14
	s_mul_i32 s14, s5, s15
	s_mul_i32 s31, s8, s9
	s_mul_hi_u32 s30, s8, s9
	s_add_u32 s22, s22, s31
	s_addc_u32 s30, 0, s30
	s_mul_hi_u32 s15, s5, s9
	s_add_u32 s14, s22, s14
	s_mul_i32 s9, s5, s9
	s_addc_u32 s14, s30, s23
	s_addc_u32 s15, s15, 0
	s_add_u32 s9, s14, s9
	s_addc_u32 s14, 0, s15
	s_add_u32 s8, s8, s9
	s_cselect_b32 s9, -1, 0
	s_mul_hi_u32 s15, s2, s8
	s_cmp_lg_u32 s9, 0
	s_mul_hi_u32 s9, s3, s8
	s_addc_u32 s5, s5, s14
	s_mul_i32 s8, s3, s8
	s_mul_i32 s22, s2, s5
	s_mul_hi_u32 s14, s2, s5
	s_add_u32 s15, s15, s22
	s_addc_u32 s14, 0, s14
	s_mul_hi_u32 s23, s3, s5
	s_add_u32 s8, s15, s8
	s_mul_i32 s5, s3, s5
	s_addc_u32 s8, s14, s9
	s_addc_u32 s9, s23, 0
	s_add_u32 s5, s8, s5
	s_addc_u32 s8, 0, s9
	s_mul_hi_u32 s9, s18, s5
	s_mul_i32 s14, s18, s8
	s_mul_i32 s15, s19, s5
	s_add_i32 s9, s9, s14
	s_mul_i32 s14, s18, s5
	s_add_i32 s9, s9, s15
	s_sub_i32 s15, s3, s9
	s_sub_u32 s14, s2, s14
	s_cselect_b32 s22, -1, 0
	s_cmp_lg_u32 s22, 0
	s_subb_u32 s15, s15, s19
	s_sub_u32 s23, s14, s18
	s_cselect_b32 s30, -1, 0
	s_cmp_lg_u32 s30, 0
	s_subb_u32 s15, s15, 0
	s_cmp_ge_u32 s15, s19
	s_cselect_b32 s30, -1, 0
	s_cmp_ge_u32 s23, s18
	s_cselect_b32 s23, -1, 0
	s_cmp_eq_u32 s15, s19
	s_cselect_b32 s15, s23, s30
	s_add_u32 s23, s5, 1
	s_addc_u32 s30, s8, 0
	s_add_u32 s31, s5, 2
	s_addc_u32 s34, s8, 0
	s_cmp_lg_u32 s15, 0
	s_cselect_b32 s15, s31, s23
	s_cselect_b32 s23, s34, s30
	s_cmp_lg_u32 s22, 0
	s_subb_u32 s3, s3, s9
	s_cmp_ge_u32 s3, s19
	s_cselect_b32 s9, -1, 0
	s_cmp_ge_u32 s14, s18
	s_cselect_b32 s14, -1, 0
	s_cmp_eq_u32 s3, s19
	s_cselect_b32 s3, s14, s9
	s_cmp_lg_u32 s3, 0
	s_cselect_b32 s9, s23, s8
	s_cselect_b32 s8, s15, s5
	s_andn2_b32 vcc_lo, exec_lo, s4
	s_cbranch_vccnz .LBB44_68
.LBB44_67:
	v_cvt_f32_u32_e32 v9, s18
	s_sub_i32 s4, 0, s18
	s_waitcnt lgkmcnt(0)
	s_mov_b32 s9, 0
	v_rcp_iflag_f32_e32 v9, v9
	v_mul_f32_e32 v9, 0x4f7ffffe, v9
	v_cvt_u32_f32_e32 v9, v9
	v_readfirstlane_b32 s3, v9
	s_mul_i32 s4, s4, s3
	s_mul_hi_u32 s4, s3, s4
	s_add_i32 s3, s3, s4
	s_mul_hi_u32 s3, s2, s3
	s_mul_i32 s4, s3, s18
	s_sub_i32 s2, s2, s4
	s_add_i32 s4, s3, 1
	s_sub_i32 s5, s2, s18
	s_cmp_ge_u32 s2, s18
	s_cselect_b32 s3, s4, s3
	s_cselect_b32 s2, s5, s2
	s_add_i32 s4, s3, 1
	s_cmp_ge_u32 s2, s18
	s_cselect_b32 s8, s4, s3
.LBB44_68:
	s_cbranch_execnz .LBB44_72
.LBB44_69:
	s_or_b64 s[2:3], s[20:21], s[18:19]
	s_mov_b32 s2, 0
	s_cmp_lg_u64 s[2:3], 0
	s_cbranch_scc0 .LBB44_145
; %bb.70:
	v_cvt_f32_u32_e32 v9, s18
	v_cvt_f32_u32_e32 v10, s19
	s_sub_u32 s5, 0, s18
	s_waitcnt lgkmcnt(0)
	s_subb_u32 s8, 0, s19
	v_fmamk_f32 v9, v10, 0x4f800000, v9
	v_rcp_f32_e32 v9, v9
	v_mul_f32_e32 v9, 0x5f7ffffc, v9
	v_mul_f32_e32 v10, 0x2f800000, v9
	v_trunc_f32_e32 v10, v10
	v_fmamk_f32 v9, v10, 0xcf800000, v9
	v_cvt_u32_f32_e32 v10, v10
	v_cvt_u32_f32_e32 v9, v9
	v_readfirstlane_b32 s3, v10
	v_readfirstlane_b32 s4, v9
	s_mul_i32 s9, s5, s3
	s_mul_hi_u32 s15, s5, s4
	s_mul_i32 s14, s8, s4
	s_add_i32 s9, s15, s9
	s_mul_i32 s22, s5, s4
	s_add_i32 s9, s9, s14
	s_mul_hi_u32 s15, s4, s22
	s_mul_i32 s30, s4, s9
	s_mul_hi_u32 s23, s3, s22
	s_mul_i32 s14, s3, s22
	s_mul_hi_u32 s22, s4, s9
	s_add_u32 s15, s15, s30
	s_addc_u32 s22, 0, s22
	s_mul_hi_u32 s31, s3, s9
	s_add_u32 s14, s15, s14
	s_mul_i32 s9, s3, s9
	s_addc_u32 s14, s22, s23
	s_addc_u32 s15, s31, 0
	s_add_u32 s9, s14, s9
	s_addc_u32 s14, 0, s15
	s_add_u32 s4, s4, s9
	s_cselect_b32 s9, -1, 0
	s_mul_hi_u32 s15, s5, s4
	s_cmp_lg_u32 s9, 0
	s_mul_i32 s9, s5, s4
	s_addc_u32 s3, s3, s14
	s_mul_i32 s8, s8, s4
	s_mul_i32 s5, s5, s3
	s_mul_hi_u32 s14, s4, s9
	s_add_i32 s5, s15, s5
	s_mul_hi_u32 s15, s3, s9
	s_add_i32 s5, s5, s8
	s_mul_i32 s8, s3, s9
	s_mul_i32 s23, s4, s5
	s_mul_hi_u32 s22, s4, s5
	s_add_u32 s14, s14, s23
	s_addc_u32 s22, 0, s22
	s_mul_hi_u32 s9, s3, s5
	s_add_u32 s8, s14, s8
	s_mul_i32 s5, s3, s5
	s_addc_u32 s8, s22, s15
	s_addc_u32 s9, s9, 0
	s_add_u32 s5, s8, s5
	s_addc_u32 s8, 0, s9
	s_add_u32 s4, s4, s5
	s_cselect_b32 s5, -1, 0
	s_mul_hi_u32 s9, s20, s4
	s_cmp_lg_u32 s5, 0
	s_mul_hi_u32 s5, s21, s4
	s_addc_u32 s3, s3, s8
	s_mul_i32 s4, s21, s4
	s_mul_i32 s14, s20, s3
	s_mul_hi_u32 s8, s20, s3
	s_add_u32 s9, s9, s14
	s_addc_u32 s8, 0, s8
	s_mul_hi_u32 s15, s21, s3
	s_add_u32 s4, s9, s4
	s_mul_i32 s3, s21, s3
	s_addc_u32 s4, s8, s5
	s_addc_u32 s5, s15, 0
	s_add_u32 s3, s4, s3
	s_addc_u32 s4, 0, s5
	s_mul_hi_u32 s5, s18, s3
	s_mul_i32 s8, s18, s4
	s_mul_i32 s9, s19, s3
	s_add_i32 s5, s5, s8
	s_mul_i32 s8, s18, s3
	s_add_i32 s5, s5, s9
	s_sub_i32 s9, s21, s5
	s_sub_u32 s8, s20, s8
	s_cselect_b32 s14, -1, 0
	s_cmp_lg_u32 s14, 0
	s_subb_u32 s9, s9, s19
	s_sub_u32 s15, s8, s18
	s_cselect_b32 s22, -1, 0
	s_cmp_lg_u32 s22, 0
	s_subb_u32 s9, s9, 0
	s_cmp_ge_u32 s9, s19
	s_cselect_b32 s22, -1, 0
	s_cmp_ge_u32 s15, s18
	s_cselect_b32 s15, -1, 0
	s_cmp_eq_u32 s9, s19
	s_cselect_b32 s9, s15, s22
	s_add_u32 s15, s3, 1
	s_addc_u32 s22, s4, 0
	s_add_u32 s23, s3, 2
	s_addc_u32 s30, s4, 0
	s_cmp_lg_u32 s9, 0
	s_cselect_b32 s15, s23, s15
	s_cselect_b32 s9, s30, s22
	s_cmp_lg_u32 s14, 0
	s_subb_u32 s5, s21, s5
	s_cmp_ge_u32 s5, s19
	s_cselect_b32 s14, -1, 0
	s_cmp_ge_u32 s8, s18
	s_cselect_b32 s8, -1, 0
	s_cmp_eq_u32 s5, s19
	s_cselect_b32 s5, s8, s14
	s_cmp_lg_u32 s5, 0
	s_cselect_b32 s9, s9, s4
	s_cselect_b32 s8, s15, s3
	s_andn2_b32 vcc_lo, exec_lo, s2
	s_cbranch_vccnz .LBB44_72
.LBB44_71:
	v_cvt_f32_u32_e32 v9, s18
	s_sub_i32 s3, 0, s18
	s_waitcnt lgkmcnt(0)
	s_mov_b32 s9, 0
	v_rcp_iflag_f32_e32 v9, v9
	v_mul_f32_e32 v9, 0x4f7ffffe, v9
	v_cvt_u32_f32_e32 v9, v9
	v_readfirstlane_b32 s2, v9
	s_mul_i32 s3, s3, s2
	s_mul_hi_u32 s3, s2, s3
	s_add_i32 s2, s2, s3
	s_mul_hi_u32 s2, s20, s2
	s_mul_i32 s3, s2, s18
	s_add_i32 s4, s2, 1
	s_sub_i32 s3, s20, s3
	s_sub_i32 s5, s3, s18
	s_cmp_ge_u32 s3, s18
	s_cselect_b32 s2, s4, s2
	s_cselect_b32 s3, s5, s3
	s_add_i32 s4, s2, 1
	s_cmp_ge_u32 s3, s18
	s_cselect_b32 s8, s4, s2
.LBB44_72:
	v_sub_nc_u32_e32 v7, v8, v7
	s_waitcnt lgkmcnt(0)
	v_mov_b32_e32 v8, s8
	v_mov_b32_e32 v9, s9
	ds_write_b64 v7, v[5:6] offset:6144
	s_waitcnt lgkmcnt(0)
	s_barrier
	buffer_gl0_inv
	s_and_saveexec_b32 s2, s1
; %bb.73:
	ds_read_b64 v[8:9], v7 offset:6136
; %bb.74:
	s_or_b32 exec_lo, exec_lo, s2
	v_lshlrev_b32_e32 v10, 2, v0
	s_waitcnt lgkmcnt(0)
	s_barrier
	buffer_gl0_inv
	v_cmp_ne_u64_e64 s4, v[3:4], v[5:6]
	v_add_co_u32 v10, s2, s37, v10
	v_add_co_ci_u32_e64 v11, null, s38, 0, s2
	s_mov_b32 s3, -1
	v_add_co_u32 v12, vcc_lo, 0x800, v10
	v_add_co_ci_u32_e64 v13, null, 0, v11, vcc_lo
	v_cmp_ne_u64_e32 vcc_lo, v[8:9], v[1:2]
	s_clause 0x2
	flat_load_dword v14, v[10:11]
	flat_load_dword v10, v[10:11] offset:1024
	flat_load_dword v11, v[12:13]
	v_lshlrev_b32_e32 v12, 2, v0
	v_sub_nc_u32_e32 v7, v7, v12
	s_waitcnt vmcnt(1) lgkmcnt(1)
	ds_write2st64_b32 v7, v14, v10 offset1:4
	s_waitcnt vmcnt(0) lgkmcnt(1)
	ds_write_b32 v7, v11 offset:2048
	v_lshl_add_u32 v12, v0, 3, v7
	s_waitcnt lgkmcnt(0)
	s_barrier
	buffer_gl0_inv
	ds_read2_b32 v[13:14], v12 offset1:1
	ds_read_b32 v7, v12 offset:8
	v_cndmask_b32_e64 v10, 0, 1, vcc_lo
	v_cmp_ne_u64_e32 vcc_lo, v[1:2], v[3:4]
	v_cndmask_b32_e64 v12, 0, 1, vcc_lo
	s_waitcnt lgkmcnt(1)
	v_mov_b32_e32 v9, v13
	v_mov_b32_e32 v11, v14
.LBB44_75:
	v_mov_b32_e32 v13, 0
	v_mov_b32_e32 v14, 0
	s_and_saveexec_b32 s2, s3
	s_cbranch_execz .LBB44_77
; %bb.76:
	v_cndmask_b32_e64 v14, 0, 1, s4
	s_waitcnt lgkmcnt(0)
	v_mov_b32_e32 v13, v7
.LBB44_77:
	s_or_b32 exec_lo, exec_lo, s2
	v_or_b32_e32 v19, v12, v14
	v_lshrrev_b32_e32 v18, 2, v0
	s_cmp_lg_u32 s36, 0
	s_mov_b32 s4, 0
	s_waitcnt lgkmcnt(0)
	v_cmp_gt_u32_e32 vcc_lo, 32, v0
	s_barrier
	buffer_gl0_inv
	s_cbranch_scc0 .LBB44_105
; %bb.78:
	s_mov_b32 s5, 1
	v_and_b32_e32 v2, 0xff, v19
	v_cmp_gt_u64_e64 s2, s[4:5], v[11:12]
	v_cmp_gt_u64_e64 s3, s[4:5], v[13:14]
	v_and_b32_e32 v4, 56, v18
	v_cndmask_b32_e64 v1, 0, v9, s2
	v_add_nc_u32_e32 v3, v1, v11
	v_mov_b32_e32 v1, 0
	v_cndmask_b32_e64 v3, 0, v3, s3
	v_cmp_eq_u64_e64 s4, 0, v[1:2]
	v_lshl_add_u32 v1, v0, 3, v4
	v_add_nc_u32_e32 v20, v3, v13
	v_cndmask_b32_e64 v21, 1, v10, s4
	ds_write_b8 v1, v21 offset:4
	ds_write_b32 v1, v20
	s_waitcnt lgkmcnt(0)
	s_barrier
	buffer_gl0_inv
	s_and_saveexec_b32 s5, vcc_lo
	s_cbranch_execz .LBB44_88
; %bb.79:
	v_lshlrev_b32_e32 v1, 1, v0
	v_lshlrev_b32_e32 v2, 6, v0
	s_mov_b32 s8, exec_lo
	v_and_b32_e32 v1, 0x1f8, v1
	v_add_nc_u32_e32 v3, v1, v2
	ds_read_u8 v8, v3 offset:12
	ds_read_b64 v[1:2], v3
	ds_read2_b32 v[4:5], v3 offset0:2 offset1:4
	ds_read_u8 v15, v3 offset:20
	ds_read_u8 v16, v3 offset:28
	;; [unrolled: 1-line block ×5, first 2 shown]
	ds_read_b32 v24, v3 offset:56
	ds_read2_b32 v[6:7], v3 offset0:6 offset1:8
	s_waitcnt lgkmcnt(9)
	v_cmp_eq_u16_e64 s4, 0, v8
	s_waitcnt lgkmcnt(6)
	v_or_b32_e32 v8, v15, v8
	v_cndmask_b32_e64 v25, 0, v1, s4
	v_cmp_eq_u16_e64 s4, 0, v15
	ds_read_u8 v15, v3 offset:60
	s_waitcnt lgkmcnt(6)
	v_or_b32_e32 v8, v8, v16
	v_add_nc_u32_e32 v4, v25, v4
	v_cndmask_b32_e64 v4, 0, v4, s4
	v_cmp_eq_u16_e64 s4, 0, v16
	v_add_nc_u32_e32 v4, v4, v5
	v_cndmask_b32_e64 v25, 0, v4, s4
	ds_read2_b32 v[4:5], v3 offset0:10 offset1:12
	s_waitcnt lgkmcnt(6)
	v_cmp_eq_u16_e64 s4, 0, v17
	s_waitcnt lgkmcnt(2)
	v_add_nc_u32_e32 v6, v25, v6
	v_cndmask_b32_e64 v6, 0, v6, s4
	v_cmp_eq_u16_e64 s4, 0, v22
	v_add_nc_u32_e32 v6, v6, v7
	v_or_b32_e32 v7, v8, v17
	s_waitcnt lgkmcnt(1)
	v_and_b32_e32 v8, 1, v15
	v_cndmask_b32_e64 v6, 0, v6, s4
	v_or_b32_e32 v7, v7, v22
	v_cmp_eq_u16_e64 s4, 0, v23
	s_waitcnt lgkmcnt(0)
	v_add_nc_u32_e32 v6, v6, v4
	v_or_b32_e32 v7, v7, v23
	v_and_b32_e32 v4, 1, v2
	v_cndmask_b32_e64 v6, 0, v6, s4
	v_cmp_eq_u16_e64 s4, 0, v7
	v_add_nc_u32_e32 v6, v6, v5
	v_cndmask_b32_e64 v7, 1, v4, s4
	v_cmp_eq_u32_e64 s4, 1, v8
	v_and_b32_e32 v5, 0xffffff00, v2
	v_cndmask_b32_e64 v8, v7, 1, s4
	v_cmp_eq_u16_e64 s4, 0, v15
	v_mbcnt_lo_u32_b32 v7, -1, 0
	v_or_b32_sdwa v16, v5, v8 dst_sel:DWORD dst_unused:UNUSED_PAD src0_sel:DWORD src1_sel:WORD_0
	v_cndmask_b32_e64 v6, 0, v6, s4
	v_and_b32_e32 v15, 15, v7
	v_mov_b32_dpp v22, v16 row_shr:1 row_mask:0xf bank_mask:0xf
	v_add_nc_u32_e32 v6, v6, v24
	v_mov_b32_dpp v17, v6 row_shr:1 row_mask:0xf bank_mask:0xf
	v_cmpx_ne_u32_e32 0, v15
	s_cbranch_execz .LBB44_81
; %bb.80:
	v_and_b32_e32 v16, 1, v8
	v_cmp_eq_u16_e64 s4, 0, v8
	v_and_b32_e32 v22, 1, v22
	v_cndmask_b32_e64 v8, 0, v17, s4
	v_cmp_eq_u32_e64 s4, 1, v16
	v_add_nc_u32_e32 v6, v8, v6
	v_cndmask_b32_e64 v17, v22, 1, s4
	v_or_b32_sdwa v16, v5, v17 dst_sel:DWORD dst_unused:UNUSED_PAD src0_sel:DWORD src1_sel:WORD_0
	v_mov_b32_e32 v8, v17
.LBB44_81:
	s_or_b32 exec_lo, exec_lo, s8
	v_mov_b32_dpp v17, v6 row_shr:2 row_mask:0xf bank_mask:0xf
	v_mov_b32_dpp v22, v16 row_shr:2 row_mask:0xf bank_mask:0xf
	s_mov_b32 s8, exec_lo
	v_cmpx_lt_u32_e32 1, v15
	s_cbranch_execz .LBB44_83
; %bb.82:
	v_and_b32_e32 v16, 1, v8
	v_cmp_eq_u16_e64 s4, 0, v8
	v_and_b32_e32 v22, 1, v22
	v_cndmask_b32_e64 v8, 0, v17, s4
	v_cmp_eq_u32_e64 s4, 1, v16
	v_add_nc_u32_e32 v6, v8, v6
	v_cndmask_b32_e64 v17, v22, 1, s4
	v_or_b32_sdwa v16, v5, v17 dst_sel:DWORD dst_unused:UNUSED_PAD src0_sel:DWORD src1_sel:WORD_0
	v_mov_b32_e32 v8, v17
.LBB44_83:
	s_or_b32 exec_lo, exec_lo, s8
	v_mov_b32_dpp v17, v6 row_shr:4 row_mask:0xf bank_mask:0xf
	v_mov_b32_dpp v22, v16 row_shr:4 row_mask:0xf bank_mask:0xf
	s_mov_b32 s8, exec_lo
	v_cmpx_lt_u32_e32 3, v15
	;; [unrolled: 17-line block ×3, first 2 shown]
	s_cbranch_execz .LBB44_87
; %bb.86:
	v_and_b32_e32 v15, 1, v8
	v_cmp_eq_u16_e64 s4, 0, v8
	v_and_b32_e32 v16, 1, v22
	v_cndmask_b32_e64 v8, 0, v17, s4
	v_cmp_eq_u32_e64 s4, 1, v15
	v_add_nc_u32_e32 v6, v8, v6
	v_cndmask_b32_e64 v15, v16, 1, s4
	v_or_b32_sdwa v16, v5, v15 dst_sel:DWORD dst_unused:UNUSED_PAD src0_sel:DWORD src1_sel:WORD_0
	v_mov_b32_e32 v8, v15
.LBB44_87:
	s_or_b32 exec_lo, exec_lo, s8
	ds_swizzle_b32 v15, v16 offset:swizzle(BROADCAST,32,15)
	ds_swizzle_b32 v16, v6 offset:swizzle(BROADCAST,32,15)
	v_and_b32_e32 v23, 1, v8
	v_cmp_eq_u16_e64 s4, 0, v8
	v_add_nc_u32_e32 v24, -1, v7
	v_and_b32_e32 v17, 16, v7
	v_bfe_i32 v22, v7, 4, 1
	; wave barrier
	s_waitcnt lgkmcnt(1)
	v_and_b32_e32 v15, 1, v15
	s_waitcnt lgkmcnt(0)
	v_cndmask_b32_e64 v16, 0, v16, s4
	v_cmp_eq_u32_e64 s4, 1, v23
	v_and_b32_e32 v16, v22, v16
	v_cndmask_b32_e64 v15, v15, 1, s4
	v_cmp_gt_i32_e64 s4, 0, v24
	v_add_nc_u32_e32 v6, v16, v6
	v_cndmask_b32_e64 v7, v24, v7, s4
	v_cmp_eq_u32_e64 s4, 0, v17
	v_lshlrev_b32_e32 v7, 2, v7
	v_cndmask_b32_e64 v8, v15, v8, s4
	ds_bpermute_b32 v6, v7, v6
	v_or_b32_sdwa v5, v5, v8 dst_sel:DWORD dst_unused:UNUSED_PAD src0_sel:DWORD src1_sel:WORD_0
	ds_bpermute_b32 v5, v7, v5
	v_mov_b32_e32 v7, 0
	v_cmp_eq_u16_sdwa s4, v2, v7 src0_sel:BYTE_0 src1_sel:DWORD
	s_waitcnt lgkmcnt(1)
	v_cndmask_b32_e64 v2, 0, v6, s4
	v_cmp_eq_u32_e64 s4, 1, v4
	v_add_nc_u32_e32 v1, v2, v1
	s_waitcnt lgkmcnt(0)
	v_and_b32_e32 v5, 1, v5
	v_cndmask_b32_e64 v4, v1, v20, s0
	v_cndmask_b32_e64 v2, v5, 1, s4
	;; [unrolled: 1-line block ×3, first 2 shown]
	ds_write_b32 v3, v4
	ds_write_b8 v3, v6 offset:4
	; wave barrier
	ds_read_u8 v7, v3 offset:12
	ds_read2_b32 v[1:2], v3 offset0:2 offset1:4
	ds_read_u8 v8, v3 offset:20
	ds_read_u8 v15, v3 offset:28
	;; [unrolled: 1-line block ×5, first 2 shown]
	ds_read_b32 v23, v3 offset:56
	ds_read_u8 v24, v3 offset:60
	s_waitcnt lgkmcnt(8)
	v_cmp_eq_u16_e64 s4, 0, v7
	v_and_b32_e32 v7, 1, v7
	v_cndmask_b32_e64 v25, 0, v4, s4
	ds_read2_b32 v[4:5], v3 offset0:6 offset1:8
	s_waitcnt lgkmcnt(7)
	v_cmp_eq_u16_e64 s4, 0, v8
	v_and_b32_e32 v8, 1, v8
	s_waitcnt lgkmcnt(1)
	v_and_b32_e32 v28, 1, v24
	v_add_nc_u32_e32 v25, v25, v1
	v_cndmask_b32_e64 v1, 0, v25, s4
	v_cmp_eq_u16_e64 s4, 0, v15
	v_and_b32_e32 v15, 1, v15
	v_add_nc_u32_e32 v26, v1, v2
	ds_read2_b32 v[1:2], v3 offset0:10 offset1:12
	v_cndmask_b32_e64 v27, 0, v26, s4
	v_cmp_eq_u16_e64 s4, 0, v16
	v_and_b32_e32 v16, 1, v16
	s_waitcnt lgkmcnt(1)
	v_add_nc_u32_e32 v4, v27, v4
	v_cndmask_b32_e64 v27, 0, v4, s4
	v_cmp_eq_u32_e64 s4, 1, v7
	v_and_b32_e32 v7, 1, v17
	v_add_nc_u32_e32 v5, v27, v5
	v_cndmask_b32_e64 v6, v6, 1, s4
	v_cmp_eq_u16_e64 s4, 0, v17
	v_and_b32_e32 v27, 1, v22
	ds_write_b8 v3, v6 offset:12
	v_cndmask_b32_e64 v17, 0, v5, s4
	v_cmp_eq_u32_e64 s4, 1, v8
	s_waitcnt lgkmcnt(1)
	v_add_nc_u32_e32 v1, v17, v1
	v_cndmask_b32_e64 v8, v6, 1, s4
	v_cmp_eq_u32_e64 s4, 1, v15
	ds_write_b8 v3, v8 offset:20
	ds_write2_b32 v3, v25, v26 offset0:2 offset1:4
	v_cndmask_b32_e64 v15, v8, 1, s4
	v_cmp_eq_u16_e64 s4, 0, v22
	ds_write_b8 v3, v15 offset:28
	v_cndmask_b32_e64 v6, 0, v1, s4
	v_cmp_eq_u32_e64 s4, 1, v16
	v_add_nc_u32_e32 v2, v6, v2
	v_cndmask_b32_e64 v16, v15, 1, s4
	v_cmp_eq_u32_e64 s4, 1, v7
	v_cndmask_b32_e64 v6, v16, 1, s4
	v_cmp_eq_u16_e64 s4, 0, v24
	ds_write_b8 v3, v16 offset:36
	ds_write_b8 v3, v6 offset:44
	v_cndmask_b32_e64 v7, 0, v2, s4
	v_cmp_eq_u32_e64 s4, 1, v27
	v_cndmask_b32_e64 v8, v6, 1, s4
	v_cmp_eq_u32_e64 s4, 1, v28
	v_add_nc_u32_e32 v6, v7, v23
	v_cndmask_b32_e64 v7, v8, 1, s4
	ds_write_b8 v3, v8 offset:52
	ds_write2_b32 v3, v4, v5 offset0:6 offset1:8
	ds_write2_b32 v3, v1, v2 offset0:10 offset1:12
	ds_write_b32 v3, v6 offset:56
	ds_write_b8 v3, v7 offset:60
.LBB44_88:
	s_or_b32 exec_lo, exec_lo, s5
	s_waitcnt lgkmcnt(0)
	s_barrier
	buffer_gl0_inv
	s_and_saveexec_b32 s4, s1
	s_cbranch_execz .LBB44_90
; %bb.89:
	v_add_nc_u32_e32 v1, -1, v0
	v_lshrrev_b32_e32 v2, 2, v1
	v_and_b32_e32 v2, 0x3ffffff8, v2
	v_lshl_add_u32 v1, v1, 3, v2
	ds_read_b32 v20, v1
	ds_read_u8 v21, v1 offset:4
.LBB44_90:
	s_or_b32 exec_lo, exec_lo, s4
	s_and_saveexec_b32 s14, vcc_lo
	s_cbranch_execz .LBB44_110
; %bb.91:
	v_mov_b32_e32 v4, 0
	v_mbcnt_lo_u32_b32 v22, -1, 0
	s_mov_b32 s9, 0
	ds_read_b64 v[1:2], v4 offset:2096
	v_cmp_eq_u32_e64 s4, 0, v22
	s_and_saveexec_b32 s5, s4
	s_cbranch_execz .LBB44_93
; %bb.92:
	s_add_i32 s8, s36, 32
	v_mov_b32_e32 v3, 1
	s_lshl_b64 s[8:9], s[8:9], 4
	s_add_u32 s8, s24, s8
	s_addc_u32 s9, s25, s9
	v_mov_b32_e32 v5, s8
	v_mov_b32_e32 v6, s9
	s_waitcnt lgkmcnt(0)
	;;#ASMSTART
	global_store_dwordx4 v[5:6], v[1:4] off	
s_waitcnt vmcnt(0)
	;;#ASMEND
.LBB44_93:
	s_or_b32 exec_lo, exec_lo, s5
	v_xad_u32 v15, v22, -1, s36
	v_add_nc_u32_e32 v3, 32, v15
	v_lshlrev_b64 v[5:6], 4, v[3:4]
	v_add_co_u32 v16, vcc_lo, s24, v5
	v_add_co_ci_u32_e64 v17, null, s25, v6, vcc_lo
	;;#ASMSTART
	global_load_dwordx4 v[5:8], v[16:17] off glc dlc	
s_waitcnt vmcnt(0)
	;;#ASMEND
	v_and_b32_e32 v6, 0xff, v6
	v_cmp_eq_u16_sdwa s8, v7, v4 src0_sel:BYTE_0 src1_sel:DWORD
	s_and_saveexec_b32 s5, s8
	s_cbranch_execz .LBB44_97
; %bb.94:
	v_mov_b32_e32 v3, 0
	s_mov_b32 s8, 0
.LBB44_95:                              ; =>This Inner Loop Header: Depth=1
	;;#ASMSTART
	global_load_dwordx4 v[5:8], v[16:17] off glc dlc	
s_waitcnt vmcnt(0)
	;;#ASMEND
	v_cmp_ne_u16_sdwa s9, v7, v3 src0_sel:BYTE_0 src1_sel:DWORD
	s_or_b32 s8, s9, s8
	s_andn2_b32 exec_lo, exec_lo, s8
	s_cbranch_execnz .LBB44_95
; %bb.96:
	s_or_b32 exec_lo, exec_lo, s8
	v_and_b32_e32 v6, 0xff, v6
.LBB44_97:
	s_or_b32 exec_lo, exec_lo, s5
	v_cmp_ne_u32_e32 vcc_lo, 31, v22
	v_mov_b32_e32 v23, 2
	v_lshlrev_b32_e64 v24, v22, -1
	v_and_b32_e32 v8, 1, v6
	s_mov_b32 s8, 0
	v_add_co_ci_u32_e64 v3, null, 0, v22, vcc_lo
	v_cmp_eq_u16_sdwa s5, v7, v23 src0_sel:BYTE_0 src1_sel:DWORD
	v_cmp_eq_u32_e32 vcc_lo, 1, v8
	s_mov_b32 s9, 1
	v_lshlrev_b32_e32 v17, 2, v3
	v_add_nc_u32_e32 v32, 8, v22
	v_and_or_b32 v4, s5, v24, 0x80000000
	v_cmp_gt_u64_e64 s5, s[8:9], v[5:6]
	v_lshl_or_b32 v33, v22, 2, 64
	ds_bpermute_b32 v3, v17, v6
	ds_bpermute_b32 v16, v17, v5
	v_ffbl_b32_e32 v4, v4
	v_add_nc_u32_e32 v34, 16, v22
	s_waitcnt lgkmcnt(1)
	v_and_b32_e32 v3, 1, v3
	v_cndmask_b32_e64 v3, v3, 1, vcc_lo
	v_cmp_gt_u32_e32 vcc_lo, 30, v22
	v_and_b32_e32 v26, 0xffff, v3
	v_cndmask_b32_e64 v8, 0, 2, vcc_lo
	v_cmp_lt_u32_e32 vcc_lo, v22, v4
	v_add_lshl_u32 v25, v8, v22, 2
	v_cndmask_b32_e32 v8, v6, v26, vcc_lo
	v_cndmask_b32_e32 v3, v6, v3, vcc_lo
	s_and_b32 vcc_lo, vcc_lo, s5
	s_waitcnt lgkmcnt(0)
	v_cndmask_b32_e32 v6, 0, v16, vcc_lo
	ds_bpermute_b32 v26, v25, v8
	v_and_b32_e32 v16, 1, v3
	v_add_nc_u32_e32 v5, v6, v5
	v_cmp_eq_u32_e32 vcc_lo, 1, v16
	v_mov_b32_e32 v16, 0
	ds_bpermute_b32 v6, v25, v5
	v_cmp_eq_u16_sdwa s5, v3, v16 src0_sel:BYTE_0 src1_sel:DWORD
	s_waitcnt lgkmcnt(1)
	v_and_b32_e32 v27, 1, v26
	v_add_nc_u32_e32 v26, 2, v22
	v_cndmask_b32_e64 v28, v27, 1, vcc_lo
	v_cmp_gt_u32_e32 vcc_lo, 28, v22
	v_and_b32_e32 v29, 0xffff, v28
	v_cndmask_b32_e64 v27, 0, 4, vcc_lo
	v_cmp_gt_u32_e32 vcc_lo, v26, v4
	v_add_lshl_u32 v27, v27, v22, 2
	v_cndmask_b32_e32 v8, v29, v8, vcc_lo
	v_cndmask_b32_e32 v30, v28, v3, vcc_lo
	s_waitcnt lgkmcnt(0)
	v_cndmask_b32_e64 v3, 0, v6, s5
	v_add_nc_u32_e32 v28, 4, v22
	ds_bpermute_b32 v6, v27, v8
	v_and_b32_e32 v29, 1, v30
	v_cndmask_b32_e64 v3, v3, 0, vcc_lo
	v_cmp_eq_u16_sdwa s5, v30, v16 src0_sel:BYTE_0 src1_sel:DWORD
	v_cmp_eq_u32_e32 vcc_lo, 1, v29
	v_add_nc_u32_e32 v3, v3, v5
	ds_bpermute_b32 v5, v27, v3
	s_waitcnt lgkmcnt(1)
	v_and_b32_e32 v6, 1, v6
	v_cndmask_b32_e64 v6, v6, 1, vcc_lo
	v_cmp_gt_u32_e32 vcc_lo, 24, v22
	v_and_b32_e32 v31, 0xffff, v6
	v_cndmask_b32_e64 v29, 0, 8, vcc_lo
	v_cmp_gt_u32_e32 vcc_lo, v28, v4
	s_waitcnt lgkmcnt(0)
	v_cndmask_b32_e64 v5, 0, v5, s5
	v_add_lshl_u32 v29, v29, v22, 2
	v_cndmask_b32_e32 v8, v31, v8, vcc_lo
	v_cndmask_b32_e32 v6, v6, v30, vcc_lo
	v_cndmask_b32_e64 v5, v5, 0, vcc_lo
	ds_bpermute_b32 v30, v29, v8
	v_and_b32_e32 v31, 1, v6
	v_add_nc_u32_e32 v3, v5, v3
	v_cmp_eq_u32_e32 vcc_lo, 1, v31
	ds_bpermute_b32 v5, v29, v3
	s_waitcnt lgkmcnt(1)
	v_and_b32_e32 v30, 1, v30
	v_cndmask_b32_e64 v30, v30, 1, vcc_lo
	v_cmp_eq_u16_sdwa vcc_lo, v6, v16 src0_sel:BYTE_0 src1_sel:DWORD
	v_and_b32_e32 v31, 0xffff, v30
	s_waitcnt lgkmcnt(0)
	v_cndmask_b32_e32 v5, 0, v5, vcc_lo
	v_cmp_gt_u32_e32 vcc_lo, v32, v4
	v_cndmask_b32_e64 v5, v5, 0, vcc_lo
	v_cndmask_b32_e32 v8, v31, v8, vcc_lo
	v_cndmask_b32_e32 v6, v30, v6, vcc_lo
	v_add_nc_u32_e32 v3, v5, v3
	ds_bpermute_b32 v5, v33, v8
	v_and_b32_e32 v30, 1, v6
	v_cmp_eq_u16_sdwa vcc_lo, v6, v16 src0_sel:BYTE_0 src1_sel:DWORD
	ds_bpermute_b32 v8, v33, v3
	s_waitcnt lgkmcnt(1)
	v_and_b32_e32 v5, 1, v5
	s_waitcnt lgkmcnt(0)
	v_cndmask_b32_e32 v8, 0, v8, vcc_lo
	v_cmp_eq_u32_e32 vcc_lo, 1, v30
	v_cndmask_b32_e64 v5, v5, 1, vcc_lo
	v_cmp_gt_u32_e32 vcc_lo, v34, v4
	v_cndmask_b32_e32 v4, v5, v6, vcc_lo
	v_cndmask_b32_e64 v5, v8, 0, vcc_lo
	v_add_nc_u32_e32 v3, v5, v3
	s_branch .LBB44_101
.LBB44_98:                              ;   in Loop: Header=BB44_101 Depth=1
	s_or_b32 exec_lo, exec_lo, s15
	v_and_b32_e32 v6, 0xff, v6
.LBB44_99:                              ;   in Loop: Header=BB44_101 Depth=1
	s_or_b32 exec_lo, exec_lo, s5
	ds_bpermute_b32 v3, v17, v6
	v_cmp_eq_u16_sdwa s5, v7, v23 src0_sel:BYTE_0 src1_sel:DWORD
	v_and_b32_e32 v4, 1, v6
	v_subrev_nc_u32_e32 v15, 32, v15
	v_and_or_b32 v8, s5, v24, 0x80000000
	v_cmp_eq_u32_e32 vcc_lo, 1, v4
	v_cmp_gt_u64_e64 s5, s[8:9], v[5:6]
	v_ffbl_b32_e32 v4, v8
	ds_bpermute_b32 v8, v17, v5
	s_waitcnt lgkmcnt(1)
	v_and_b32_e32 v3, 1, v3
	v_cndmask_b32_e64 v3, v3, 1, vcc_lo
	v_cmp_lt_u32_e32 vcc_lo, v22, v4
	v_and_b32_e32 v35, 0xffff, v3
	v_cndmask_b32_e32 v3, v6, v3, vcc_lo
	v_cndmask_b32_e32 v35, v6, v35, vcc_lo
	s_and_b32 vcc_lo, vcc_lo, s5
	v_cmp_eq_u16_sdwa s5, v3, v16 src0_sel:BYTE_0 src1_sel:DWORD
	s_waitcnt lgkmcnt(0)
	v_cndmask_b32_e32 v6, 0, v8, vcc_lo
	v_and_b32_e32 v8, 1, v3
	ds_bpermute_b32 v36, v25, v35
	v_add_nc_u32_e32 v5, v6, v5
	v_cmp_eq_u32_e32 vcc_lo, 1, v8
	ds_bpermute_b32 v6, v25, v5
	s_waitcnt lgkmcnt(1)
	v_and_b32_e32 v36, 1, v36
	v_cndmask_b32_e64 v8, v36, 1, vcc_lo
	v_cmp_gt_u32_e32 vcc_lo, v26, v4
	v_and_b32_e32 v36, 0xffff, v8
	v_cndmask_b32_e32 v8, v8, v3, vcc_lo
	s_waitcnt lgkmcnt(0)
	v_cndmask_b32_e64 v3, 0, v6, s5
	v_cndmask_b32_e32 v35, v36, v35, vcc_lo
	v_and_b32_e32 v36, 1, v8
	v_cndmask_b32_e64 v3, v3, 0, vcc_lo
	v_cmp_eq_u16_sdwa s5, v8, v16 src0_sel:BYTE_0 src1_sel:DWORD
	ds_bpermute_b32 v6, v27, v35
	v_cmp_eq_u32_e32 vcc_lo, 1, v36
	v_add_nc_u32_e32 v3, v3, v5
	ds_bpermute_b32 v5, v27, v3
	s_waitcnt lgkmcnt(1)
	v_and_b32_e32 v6, 1, v6
	v_cndmask_b32_e64 v6, v6, 1, vcc_lo
	v_cmp_gt_u32_e32 vcc_lo, v28, v4
	s_waitcnt lgkmcnt(0)
	v_cndmask_b32_e64 v5, 0, v5, s5
	s_mov_b32 s5, 0
	v_and_b32_e32 v36, 0xffff, v6
	v_cndmask_b32_e32 v6, v6, v8, vcc_lo
	v_cndmask_b32_e64 v5, v5, 0, vcc_lo
	v_cndmask_b32_e32 v8, v36, v35, vcc_lo
	v_and_b32_e32 v36, 1, v6
	v_add_nc_u32_e32 v3, v5, v3
	ds_bpermute_b32 v35, v29, v8
	v_cmp_eq_u32_e32 vcc_lo, 1, v36
	ds_bpermute_b32 v5, v29, v3
	s_waitcnt lgkmcnt(1)
	v_and_b32_e32 v35, 1, v35
	v_cndmask_b32_e64 v35, v35, 1, vcc_lo
	v_cmp_eq_u16_sdwa vcc_lo, v6, v16 src0_sel:BYTE_0 src1_sel:DWORD
	v_and_b32_e32 v36, 0xffff, v35
	s_waitcnt lgkmcnt(0)
	v_cndmask_b32_e32 v5, 0, v5, vcc_lo
	v_cmp_gt_u32_e32 vcc_lo, v32, v4
	v_cndmask_b32_e64 v5, v5, 0, vcc_lo
	v_cndmask_b32_e32 v8, v36, v8, vcc_lo
	v_cndmask_b32_e32 v6, v35, v6, vcc_lo
	v_add_nc_u32_e32 v3, v5, v3
	ds_bpermute_b32 v5, v33, v8
	v_and_b32_e32 v35, 1, v6
	ds_bpermute_b32 v8, v33, v3
	v_cmp_eq_u32_e32 vcc_lo, 1, v35
	s_waitcnt lgkmcnt(1)
	v_cndmask_b32_e64 v5, v5, 1, vcc_lo
	v_cmp_eq_u16_sdwa vcc_lo, v6, v16 src0_sel:BYTE_0 src1_sel:DWORD
	s_waitcnt lgkmcnt(0)
	v_cndmask_b32_e32 v8, 0, v8, vcc_lo
	v_cmp_gt_u32_e32 vcc_lo, v34, v4
	v_cndmask_b32_e32 v4, v5, v6, vcc_lo
	v_cndmask_b32_e64 v5, v8, 0, vcc_lo
	v_cmp_eq_u16_sdwa vcc_lo, v30, v16 src0_sel:BYTE_0 src1_sel:DWORD
	v_and_b32_e32 v4, 1, v4
	v_add_nc_u32_e32 v3, v5, v3
	v_and_b32_e32 v5, 1, v30
	v_cndmask_b32_e32 v3, 0, v3, vcc_lo
	v_cmp_eq_u32_e32 vcc_lo, 1, v5
	v_add_nc_u32_e32 v3, v3, v31
	v_cndmask_b32_e64 v4, v4, 1, vcc_lo
.LBB44_100:                             ;   in Loop: Header=BB44_101 Depth=1
	s_and_b32 vcc_lo, exec_lo, s5
	s_cbranch_vccnz .LBB44_106
.LBB44_101:                             ; =>This Loop Header: Depth=1
                                        ;     Child Loop BB44_104 Depth 2
	v_cmp_ne_u16_sdwa s5, v7, v23 src0_sel:BYTE_0 src1_sel:DWORD
	v_mov_b32_e32 v30, v4
	v_mov_b32_e32 v31, v3
                                        ; implicit-def: $vgpr4
                                        ; implicit-def: $vgpr3
                                        ; implicit-def: $vgpr7
	s_cmp_lg_u32 s5, exec_lo
	s_mov_b32 s5, -1
	s_cbranch_scc1 .LBB44_100
; %bb.102:                              ;   in Loop: Header=BB44_101 Depth=1
	v_lshlrev_b64 v[3:4], 4, v[15:16]
	v_add_co_u32 v3, vcc_lo, s24, v3
	v_add_co_ci_u32_e64 v4, null, s25, v4, vcc_lo
	;;#ASMSTART
	global_load_dwordx4 v[5:8], v[3:4] off glc dlc	
s_waitcnt vmcnt(0)
	;;#ASMEND
	v_and_b32_e32 v6, 0xff, v6
	v_cmp_eq_u16_sdwa s15, v7, v16 src0_sel:BYTE_0 src1_sel:DWORD
	s_and_saveexec_b32 s5, s15
	s_cbranch_execz .LBB44_99
; %bb.103:                              ;   in Loop: Header=BB44_101 Depth=1
	s_mov_b32 s15, 0
.LBB44_104:                             ;   Parent Loop BB44_101 Depth=1
                                        ; =>  This Inner Loop Header: Depth=2
	;;#ASMSTART
	global_load_dwordx4 v[5:8], v[3:4] off glc dlc	
s_waitcnt vmcnt(0)
	;;#ASMEND
	v_cmp_ne_u16_sdwa s18, v7, v16 src0_sel:BYTE_0 src1_sel:DWORD
	s_or_b32 s15, s18, s15
	s_andn2_b32 exec_lo, exec_lo, s15
	s_cbranch_execnz .LBB44_104
	s_branch .LBB44_98
.LBB44_105:
                                        ; implicit-def: $vgpr7
                                        ; implicit-def: $vgpr5
                                        ; implicit-def: $vgpr6
	s_cbranch_execnz .LBB44_111
	s_branch .LBB44_128
.LBB44_106:
	s_and_saveexec_b32 s5, s4
	s_cbranch_execz .LBB44_108
; %bb.107:
	v_mov_b32_e32 v4, 0
	v_and_b32_e32 v3, 1, v2
	s_mov_b32 s9, 0
	s_add_i32 s8, s36, 32
	v_and_b32_e32 v5, 1, v30
	v_cmp_eq_u32_sdwa vcc_lo, v2, v4 src0_sel:BYTE_0 src1_sel:DWORD
	s_lshl_b64 s[8:9], s[8:9], 4
	s_add_u32 s8, s24, s8
	s_addc_u32 s9, s25, s9
	v_cndmask_b32_e32 v2, 0, v31, vcc_lo
	v_cmp_eq_u32_e32 vcc_lo, 1, v3
	v_mov_b32_e32 v3, 2
	v_add_nc_u32_e32 v1, v2, v1
	v_cndmask_b32_e64 v2, v5, 1, vcc_lo
	v_mov_b32_e32 v5, s8
	v_mov_b32_e32 v6, s9
	;;#ASMSTART
	global_store_dwordx4 v[5:6], v[1:4] off	
s_waitcnt vmcnt(0)
	;;#ASMEND
.LBB44_108:
	s_or_b32 exec_lo, exec_lo, s5
	s_and_b32 exec_lo, exec_lo, s0
	s_cbranch_execz .LBB44_110
; %bb.109:
	v_mov_b32_e32 v1, 0
	ds_write_b32 v1, v31
	ds_write_b8 v1, v30 offset:4
.LBB44_110:
	s_or_b32 exec_lo, exec_lo, s14
	v_mov_b32_e32 v1, 0
	v_and_b32_e32 v3, 1, v10
	s_waitcnt lgkmcnt(0)
	s_barrier
	buffer_gl0_inv
	ds_read_b32 v2, v1
	v_cmp_eq_u32_e32 vcc_lo, 1, v3
	s_mov_b32 s5, 1
	s_mov_b32 s4, 0
	v_cndmask_b32_e64 v3, v21, 1, vcc_lo
	v_cmp_gt_u64_e32 vcc_lo, s[4:5], v[9:10]
	v_cndmask_b32_e64 v3, v3, v10, s0
	v_cndmask_b32_e32 v4, 0, v20, vcc_lo
	v_cmp_eq_u16_sdwa vcc_lo, v3, v1 src0_sel:BYTE_0 src1_sel:DWORD
	v_cndmask_b32_e64 v4, v4, 0, s0
	s_waitcnt lgkmcnt(0)
	v_cndmask_b32_e32 v1, 0, v2, vcc_lo
	v_add3_u32 v7, v4, v9, v1
	v_cndmask_b32_e64 v1, 0, v7, s2
	v_add_nc_u32_e32 v5, v1, v11
	v_cndmask_b32_e64 v1, 0, v5, s3
	v_add_nc_u32_e32 v6, v1, v13
	s_branch .LBB44_128
.LBB44_111:
	s_cmp_lg_u64 s[28:29], 0
	s_cselect_b32 s2, -1, 0
	s_cmp_lg_u64 s[10:11], 0
	s_cselect_b32 s3, -1, 0
	s_and_b32 s2, s2, s3
	s_and_b32 s3, s0, s2
	s_and_saveexec_b32 s2, s3
	s_cbranch_execz .LBB44_113
; %bb.112:
	v_mov_b32_e32 v1, 0
	s_mov_b32 s4, 0
	s_mov_b32 s5, 1
	s_clause 0x1
	global_load_dword v2, v1, s[10:11]
	global_load_ubyte v3, v1, s[10:11] offset:4
	v_cmp_gt_u64_e32 vcc_lo, s[4:5], v[9:10]
	s_waitcnt vmcnt(1)
	v_cndmask_b32_e32 v4, 0, v2, vcc_lo
	v_and_b32_e32 v2, 1, v10
	s_waitcnt vmcnt(0)
	v_and_b32_e32 v3, 1, v3
	v_add_nc_u32_e32 v9, v4, v9
	v_cmp_eq_u64_e32 vcc_lo, 0, v[1:2]
	v_cndmask_b32_e32 v10, 1, v3, vcc_lo
.LBB44_113:
	s_or_b32 exec_lo, exec_lo, s2
	s_mov_b32 s2, 0
	s_mov_b32 s3, 1
	v_and_b32_e32 v2, 0xff, v19
	v_cmp_gt_u64_e32 vcc_lo, s[2:3], v[11:12]
	v_cmp_gt_u64_e64 s2, s[2:3], v[13:14]
	v_and_b32_e32 v3, 56, v18
	s_mov_b32 s4, exec_lo
	v_cndmask_b32_e32 v1, 0, v9, vcc_lo
	v_add_nc_u32_e32 v5, v1, v11
	v_mov_b32_e32 v1, 0
	v_cndmask_b32_e64 v6, 0, v5, s2
	v_cmp_eq_u64_e64 s3, 0, v[1:2]
	v_lshl_add_u32 v1, v0, 3, v3
	v_add_nc_u32_e32 v6, v6, v13
	v_cndmask_b32_e64 v4, 1, v10, s3
	ds_write_b8 v1, v4 offset:4
	ds_write_b32 v1, v6
	s_waitcnt lgkmcnt(0)
	s_barrier
	buffer_gl0_inv
	v_cmpx_gt_u32_e32 32, v0
	s_cbranch_execz .LBB44_123
; %bb.114:
	v_lshlrev_b32_e32 v1, 1, v0
	v_lshlrev_b32_e32 v2, 6, v0
	s_mov_b32 s5, exec_lo
	v_and_b32_e32 v1, 0x1f8, v1
	v_add_nc_u32_e32 v3, v1, v2
	ds_read_u8 v12, v3 offset:12
	ds_read_b64 v[1:2], v3
	ds_read2_b32 v[7:8], v3 offset0:2 offset1:4
	ds_read_u8 v16, v3 offset:20
	ds_read_u8 v17, v3 offset:28
	ds_read_u8 v18, v3 offset:36
	ds_read_u8 v19, v3 offset:44
	ds_read_u8 v20, v3 offset:52
	ds_read_b32 v21, v3 offset:56
	ds_read2_b32 v[14:15], v3 offset0:6 offset1:8
	s_waitcnt lgkmcnt(9)
	v_cmp_eq_u16_e64 s3, 0, v12
	s_waitcnt lgkmcnt(6)
	v_or_b32_e32 v12, v16, v12
	v_cndmask_b32_e64 v22, 0, v1, s3
	v_cmp_eq_u16_e64 s3, 0, v16
	ds_read_u8 v16, v3 offset:60
	s_waitcnt lgkmcnt(6)
	v_or_b32_e32 v12, v12, v17
	v_add_nc_u32_e32 v7, v22, v7
	s_waitcnt lgkmcnt(5)
	v_or_b32_e32 v12, v12, v18
	v_cndmask_b32_e64 v7, 0, v7, s3
	v_cmp_eq_u16_e64 s3, 0, v17
	s_waitcnt lgkmcnt(4)
	v_or_b32_e32 v12, v12, v19
	v_add_nc_u32_e32 v7, v7, v8
	s_waitcnt lgkmcnt(3)
	v_or_b32_e32 v12, v12, v20
	v_cndmask_b32_e64 v22, 0, v7, s3
	ds_read2_b32 v[7:8], v3 offset0:10 offset1:12
	v_cmp_eq_u16_e64 s3, 0, v18
	s_waitcnt lgkmcnt(2)
	v_add_nc_u32_e32 v14, v22, v14
	v_cndmask_b32_e64 v14, 0, v14, s3
	v_cmp_eq_u16_e64 s3, 0, v19
	v_add_nc_u32_e32 v14, v14, v15
	s_waitcnt lgkmcnt(1)
	v_and_b32_e32 v15, 1, v16
	v_cndmask_b32_e64 v14, 0, v14, s3
	v_cmp_eq_u16_e64 s3, 0, v20
	s_waitcnt lgkmcnt(0)
	v_add_nc_u32_e32 v14, v14, v7
	v_and_b32_e32 v7, 1, v2
	v_cndmask_b32_e64 v14, 0, v14, s3
	v_cmp_eq_u16_e64 s3, 0, v12
	v_add_nc_u32_e32 v14, v14, v8
	v_cndmask_b32_e64 v12, 1, v7, s3
	v_cmp_eq_u32_e64 s3, 1, v15
	v_and_b32_e32 v8, 0xffffff00, v2
	v_cndmask_b32_e64 v15, v12, 1, s3
	v_cmp_eq_u16_e64 s3, 0, v16
	v_or_b32_sdwa v17, v8, v15 dst_sel:DWORD dst_unused:UNUSED_PAD src0_sel:DWORD src1_sel:WORD_0
	v_cndmask_b32_e64 v12, 0, v14, s3
	v_mbcnt_lo_u32_b32 v14, -1, 0
	v_mov_b32_dpp v19, v17 row_shr:1 row_mask:0xf bank_mask:0xf
	v_add_nc_u32_e32 v12, v12, v21
	v_and_b32_e32 v16, 15, v14
	v_mov_b32_dpp v18, v12 row_shr:1 row_mask:0xf bank_mask:0xf
	v_cmpx_ne_u32_e32 0, v16
	s_cbranch_execz .LBB44_116
; %bb.115:
	v_and_b32_e32 v17, 1, v15
	v_cmp_eq_u16_e64 s3, 0, v15
	v_and_b32_e32 v19, 1, v19
	v_cndmask_b32_e64 v15, 0, v18, s3
	v_cmp_eq_u32_e64 s3, 1, v17
	v_add_nc_u32_e32 v12, v15, v12
	v_cndmask_b32_e64 v18, v19, 1, s3
	v_or_b32_sdwa v17, v8, v18 dst_sel:DWORD dst_unused:UNUSED_PAD src0_sel:DWORD src1_sel:WORD_0
	v_mov_b32_e32 v15, v18
.LBB44_116:
	s_or_b32 exec_lo, exec_lo, s5
	v_mov_b32_dpp v18, v12 row_shr:2 row_mask:0xf bank_mask:0xf
	v_mov_b32_dpp v19, v17 row_shr:2 row_mask:0xf bank_mask:0xf
	s_mov_b32 s5, exec_lo
	v_cmpx_lt_u32_e32 1, v16
	s_cbranch_execz .LBB44_118
; %bb.117:
	v_and_b32_e32 v17, 1, v15
	v_cmp_eq_u16_e64 s3, 0, v15
	v_and_b32_e32 v19, 1, v19
	v_cndmask_b32_e64 v15, 0, v18, s3
	v_cmp_eq_u32_e64 s3, 1, v17
	v_add_nc_u32_e32 v12, v15, v12
	v_cndmask_b32_e64 v18, v19, 1, s3
	v_or_b32_sdwa v17, v8, v18 dst_sel:DWORD dst_unused:UNUSED_PAD src0_sel:DWORD src1_sel:WORD_0
	v_mov_b32_e32 v15, v18
.LBB44_118:
	s_or_b32 exec_lo, exec_lo, s5
	v_mov_b32_dpp v18, v12 row_shr:4 row_mask:0xf bank_mask:0xf
	v_mov_b32_dpp v19, v17 row_shr:4 row_mask:0xf bank_mask:0xf
	s_mov_b32 s5, exec_lo
	v_cmpx_lt_u32_e32 3, v16
	;; [unrolled: 17-line block ×3, first 2 shown]
	s_cbranch_execz .LBB44_122
; %bb.121:
	v_and_b32_e32 v16, 1, v15
	v_cmp_eq_u16_e64 s3, 0, v15
	v_and_b32_e32 v17, 1, v19
	v_cndmask_b32_e64 v15, 0, v18, s3
	v_cmp_eq_u32_e64 s3, 1, v16
	v_add_nc_u32_e32 v12, v15, v12
	v_cndmask_b32_e64 v16, v17, 1, s3
	v_or_b32_sdwa v17, v8, v16 dst_sel:DWORD dst_unused:UNUSED_PAD src0_sel:DWORD src1_sel:WORD_0
	v_mov_b32_e32 v15, v16
.LBB44_122:
	s_or_b32 exec_lo, exec_lo, s5
	ds_swizzle_b32 v16, v17 offset:swizzle(BROADCAST,32,15)
	ds_swizzle_b32 v17, v12 offset:swizzle(BROADCAST,32,15)
	v_and_b32_e32 v20, 1, v15
	v_cmp_eq_u16_e64 s3, 0, v15
	v_add_nc_u32_e32 v21, -1, v14
	v_and_b32_e32 v18, 16, v14
	v_bfe_i32 v19, v14, 4, 1
	; wave barrier
	s_waitcnt lgkmcnt(1)
	v_and_b32_e32 v16, 1, v16
	s_waitcnt lgkmcnt(0)
	v_cndmask_b32_e64 v17, 0, v17, s3
	v_cmp_eq_u32_e64 s3, 1, v20
	v_and_b32_e32 v17, v19, v17
	v_cndmask_b32_e64 v16, v16, 1, s3
	v_cmp_gt_i32_e64 s3, 0, v21
	v_add_nc_u32_e32 v12, v17, v12
	v_cndmask_b32_e64 v14, v21, v14, s3
	v_cmp_eq_u32_e64 s3, 0, v18
	v_lshlrev_b32_e32 v14, 2, v14
	v_cndmask_b32_e64 v15, v16, v15, s3
	ds_bpermute_b32 v12, v14, v12
	v_or_b32_sdwa v8, v8, v15 dst_sel:DWORD dst_unused:UNUSED_PAD src0_sel:DWORD src1_sel:WORD_0
	ds_bpermute_b32 v8, v14, v8
	v_mov_b32_e32 v14, 0
	v_cmp_eq_u16_sdwa s3, v2, v14 src0_sel:BYTE_0 src1_sel:DWORD
	s_waitcnt lgkmcnt(1)
	v_cndmask_b32_e64 v2, 0, v12, s3
	v_cmp_eq_u32_e64 s3, 1, v7
	v_add_nc_u32_e32 v1, v2, v1
	s_waitcnt lgkmcnt(0)
	v_and_b32_e32 v8, 1, v8
	v_cndmask_b32_e64 v7, v1, v6, s0
	v_cndmask_b32_e64 v2, v8, 1, s3
	;; [unrolled: 1-line block ×3, first 2 shown]
	ds_write_b32 v3, v7
	ds_write_b8 v3, v4 offset:4
	; wave barrier
	ds_read_u8 v12, v3 offset:12
	ds_read2_b32 v[1:2], v3 offset0:2 offset1:4
	ds_read_u8 v14, v3 offset:20
	ds_read_u8 v15, v3 offset:28
	;; [unrolled: 1-line block ×5, first 2 shown]
	ds_read_b32 v19, v3 offset:56
	ds_read_u8 v20, v3 offset:60
	s_waitcnt lgkmcnt(8)
	v_cmp_eq_u16_e64 s3, 0, v12
	v_and_b32_e32 v12, 1, v12
	v_cndmask_b32_e64 v21, 0, v7, s3
	ds_read2_b32 v[7:8], v3 offset0:6 offset1:8
	s_waitcnt lgkmcnt(7)
	v_cmp_eq_u16_e64 s3, 0, v14
	v_and_b32_e32 v14, 1, v14
	s_waitcnt lgkmcnt(1)
	v_and_b32_e32 v24, 1, v20
	v_add_nc_u32_e32 v21, v21, v1
	v_cndmask_b32_e64 v1, 0, v21, s3
	v_cmp_eq_u16_e64 s3, 0, v15
	v_and_b32_e32 v15, 1, v15
	v_add_nc_u32_e32 v22, v1, v2
	ds_read2_b32 v[1:2], v3 offset0:10 offset1:12
	v_cndmask_b32_e64 v23, 0, v22, s3
	v_cmp_eq_u16_e64 s3, 0, v16
	v_and_b32_e32 v16, 1, v16
	s_waitcnt lgkmcnt(1)
	v_add_nc_u32_e32 v7, v23, v7
	v_cndmask_b32_e64 v23, 0, v7, s3
	v_cmp_eq_u32_e64 s3, 1, v12
	v_and_b32_e32 v12, 1, v17
	v_add_nc_u32_e32 v8, v23, v8
	v_cndmask_b32_e64 v4, v4, 1, s3
	v_cmp_eq_u16_e64 s3, 0, v17
	v_and_b32_e32 v23, 1, v18
	ds_write_b8 v3, v4 offset:12
	v_cndmask_b32_e64 v17, 0, v8, s3
	v_cmp_eq_u32_e64 s3, 1, v14
	s_waitcnt lgkmcnt(1)
	v_add_nc_u32_e32 v1, v17, v1
	v_cndmask_b32_e64 v14, v4, 1, s3
	v_cmp_eq_u32_e64 s3, 1, v15
	ds_write_b8 v3, v14 offset:20
	ds_write2_b32 v3, v21, v22 offset0:2 offset1:4
	v_cndmask_b32_e64 v15, v14, 1, s3
	v_cmp_eq_u16_e64 s3, 0, v18
	ds_write_b8 v3, v15 offset:28
	v_cndmask_b32_e64 v4, 0, v1, s3
	v_cmp_eq_u32_e64 s3, 1, v16
	v_add_nc_u32_e32 v2, v4, v2
	v_cndmask_b32_e64 v16, v15, 1, s3
	v_cmp_eq_u32_e64 s3, 1, v12
	v_cndmask_b32_e64 v4, v16, 1, s3
	v_cmp_eq_u16_e64 s3, 0, v20
	ds_write_b8 v3, v16 offset:36
	ds_write_b8 v3, v4 offset:44
	v_cndmask_b32_e64 v12, 0, v2, s3
	v_cmp_eq_u32_e64 s3, 1, v23
	v_cndmask_b32_e64 v14, v4, 1, s3
	v_cmp_eq_u32_e64 s3, 1, v24
	v_add_nc_u32_e32 v4, v12, v19
	v_cndmask_b32_e64 v12, v14, 1, s3
	ds_write_b8 v3, v14 offset:52
	ds_write2_b32 v3, v7, v8 offset0:6 offset1:8
	ds_write2_b32 v3, v1, v2 offset0:10 offset1:12
	ds_write_b32 v3, v4 offset:56
	ds_write_b8 v3, v12 offset:60
.LBB44_123:
	s_or_b32 exec_lo, exec_lo, s4
	s_waitcnt lgkmcnt(0)
	s_barrier
	buffer_gl0_inv
	s_and_saveexec_b32 s3, s1
	s_cbranch_execz .LBB44_125
; %bb.124:
	v_add_nc_u32_e32 v1, -1, v0
	s_mov_b32 s4, 0
	s_mov_b32 s5, 1
	v_cmp_gt_u64_e64 s1, s[4:5], v[9:10]
	v_lshrrev_b32_e32 v2, 2, v1
	v_and_b32_e32 v2, 0x3ffffff8, v2
	v_lshl_add_u32 v1, v1, 3, v2
	ds_read_b32 v1, v1
	;;#ASMSTART
	;;#ASMEND
	s_waitcnt lgkmcnt(0)
	v_cndmask_b32_e64 v1, 0, v1, s1
	v_add_nc_u32_e32 v9, v1, v9
	v_cndmask_b32_e32 v1, 0, v9, vcc_lo
	v_add_nc_u32_e32 v5, v1, v11
	v_cndmask_b32_e64 v1, 0, v5, s2
	v_add_nc_u32_e32 v6, v1, v13
.LBB44_125:
	s_or_b32 exec_lo, exec_lo, s3
	s_and_saveexec_b32 s1, s0
	s_cbranch_execz .LBB44_127
; %bb.126:
	v_mov_b32_e32 v4, 0
	s_add_u32 s2, s24, 0x200
	s_addc_u32 s3, s25, 0
	v_mov_b32_e32 v3, 2
	v_mov_b32_e32 v8, s3
	ds_read_b32 v1, v4 offset:2096
	ds_read_u8 v2, v4 offset:2100
	v_mov_b32_e32 v7, s2
	s_waitcnt lgkmcnt(0)
	;;#ASMSTART
	global_store_dwordx4 v[7:8], v[1:4] off	
s_waitcnt vmcnt(0)
	;;#ASMEND
.LBB44_127:
	s_or_b32 exec_lo, exec_lo, s1
	v_mov_b32_e32 v7, v9
.LBB44_128:
	s_add_u32 s0, s6, s16
	v_mov_b32_e32 v3, 0
	s_addc_u32 s1, s7, s17
	s_add_u32 s0, s0, s12
	s_addc_u32 s1, s1, s13
	s_and_b32 vcc_lo, exec_lo, s27
	s_cbranch_vccz .LBB44_140
; %bb.129:
	v_mul_u32_u24_e32 v1, 3, v0
	v_mov_b32_e32 v4, 0
	v_mov_b32_e32 v2, 0
	s_add_i32 s33, s33, s26
	s_mov_b32 s2, exec_lo
	v_cmpx_gt_u32_e64 s33, v1
	s_cbranch_execz .LBB44_135
; %bb.130:
	v_add_nc_u32_e32 v3, 1, v1
	v_mov_b32_e32 v2, 0
	v_mov_b32_e32 v4, 0
	s_mov_b32 s3, exec_lo
	v_cmpx_gt_u32_e64 s33, v3
	s_cbranch_execz .LBB44_134
; %bb.131:
	v_add_nc_u32_e32 v2, 2, v1
	v_cmp_gt_u32_e32 vcc_lo, s33, v2
	v_mov_b32_e32 v2, 0
	s_and_saveexec_b32 s4, vcc_lo
; %bb.132:
	v_mov_b32_e32 v2, v6
; %bb.133:
	s_or_b32 exec_lo, exec_lo, s4
	v_mov_b32_e32 v4, v5
.LBB44_134:
	s_or_b32 exec_lo, exec_lo, s3
	v_mov_b32_e32 v3, v7
.LBB44_135:
	s_or_b32 exec_lo, exec_lo, s2
	v_lshlrev_b32_e32 v8, 2, v1
	v_lshlrev_b32_e32 v9, 3, v0
	s_barrier
	buffer_gl0_inv
	ds_write2_b32 v8, v3, v4 offset1:1
	v_sub_nc_u32_e32 v1, v8, v9
	ds_write_b32 v8, v2 offset:8
	s_waitcnt lgkmcnt(0)
	s_barrier
	buffer_gl0_inv
	ds_read2st64_b32 v[1:2], v1 offset0:4 offset1:8
	v_lshlrev_b32_e32 v3, 2, v0
	v_add_co_u32 v3, s2, s0, v3
	v_add_co_ci_u32_e64 v4, null, s1, 0, s2
	s_mov_b32 s2, exec_lo
	v_cmpx_gt_u32_e64 s33, v0
	s_cbranch_execz .LBB44_137
; %bb.136:
	v_sub_nc_u32_e32 v9, 0, v9
	v_add_nc_u32_e32 v8, v8, v9
	ds_read_b32 v8, v8
	s_waitcnt lgkmcnt(0)
	flat_store_dword v[3:4], v8
.LBB44_137:
	s_or_b32 exec_lo, exec_lo, s2
	v_or_b32_e32 v8, 0x100, v0
	s_mov_b32 s2, exec_lo
	v_cmpx_gt_u32_e64 s33, v8
	s_cbranch_execz .LBB44_139
; %bb.138:
	s_waitcnt lgkmcnt(0)
	flat_store_dword v[3:4], v1 offset:1024
.LBB44_139:
	s_or_b32 exec_lo, exec_lo, s2
	s_waitcnt lgkmcnt(0)
	v_or_b32_e32 v1, 0x200, v0
	v_cmp_gt_u32_e64 s2, s33, v1
	s_branch .LBB44_142
.LBB44_140:
	s_mov_b32 s2, 0
                                        ; implicit-def: $vgpr2
	s_cbranch_execz .LBB44_142
; %bb.141:
	v_mul_u32_u24_e32 v1, 12, v0
	v_lshlrev_b32_e32 v2, 3, v0
	s_waitcnt_vscnt null, 0x0
	s_barrier
	buffer_gl0_inv
	ds_write2_b32 v1, v7, v5 offset1:1
	v_sub_nc_u32_e32 v2, v1, v2
	ds_write_b32 v1, v6 offset:8
	s_waitcnt lgkmcnt(0)
	s_barrier
	buffer_gl0_inv
	ds_read2st64_b32 v[3:4], v2 offset1:4
	ds_read_b32 v2, v2 offset:2048
	v_lshlrev_b32_e32 v1, 2, v0
	s_or_b32 s2, s2, exec_lo
	v_add_co_u32 v5, s3, s0, v1
	v_add_co_ci_u32_e64 v6, null, s1, 0, s3
	s_waitcnt lgkmcnt(1)
	flat_store_dword v[5:6], v3
	flat_store_dword v[5:6], v4 offset:1024
.LBB44_142:
	s_and_saveexec_b32 s3, s2
	s_cbranch_execnz .LBB44_144
; %bb.143:
	s_endpgm
.LBB44_144:
	v_lshlrev_b32_e32 v0, 2, v0
	v_add_co_u32 v0, s0, s0, v0
	v_add_co_ci_u32_e64 v1, null, s1, 0, s0
	v_add_co_u32 v0, vcc_lo, 0x800, v0
	v_add_co_ci_u32_e64 v1, null, 0, v1, vcc_lo
	s_waitcnt lgkmcnt(2)
	flat_store_dword v[0:1], v2
	s_endpgm
.LBB44_145:
                                        ; implicit-def: $sgpr8_sgpr9
	s_branch .LBB44_71
.LBB44_146:
                                        ; implicit-def: $sgpr8_sgpr9
	s_branch .LBB44_34
.LBB44_147:
                                        ; implicit-def: $sgpr8_sgpr9
	s_branch .LBB44_67
	.section	.rodata,"a",@progbits
	.p2align	6, 0x0
	.amdhsa_kernel _ZN7rocprim17ROCPRIM_400000_NS6detail17trampoline_kernelINS0_14default_configENS1_27scan_by_key_config_selectorImiEEZZNS1_16scan_by_key_implILNS1_25lookback_scan_determinismE0ELb0ES3_N6thrust23THRUST_200600_302600_NS18transform_iteratorI9row_indexNS9_17counting_iteratorImNS9_11use_defaultESD_SD_EESD_SD_EENS9_6detail15normal_iteratorINS9_10device_ptrIiEEEESK_iNS9_4plusIvEENS9_8equal_toIvEEiEE10hipError_tPvRmT2_T3_T4_T5_mT6_T7_P12ihipStream_tbENKUlT_T0_E_clISt17integral_constantIbLb0EES14_IbLb1EEEEDaS10_S11_EUlS10_E_NS1_11comp_targetILNS1_3genE8ELNS1_11target_archE1030ELNS1_3gpuE2ELNS1_3repE0EEENS1_30default_config_static_selectorELNS0_4arch9wavefront6targetE0EEEvT1_
		.amdhsa_group_segment_fixed_size 10240
		.amdhsa_private_segment_fixed_size 0
		.amdhsa_kernarg_size 120
		.amdhsa_user_sgpr_count 6
		.amdhsa_user_sgpr_private_segment_buffer 1
		.amdhsa_user_sgpr_dispatch_ptr 0
		.amdhsa_user_sgpr_queue_ptr 0
		.amdhsa_user_sgpr_kernarg_segment_ptr 1
		.amdhsa_user_sgpr_dispatch_id 0
		.amdhsa_user_sgpr_flat_scratch_init 0
		.amdhsa_user_sgpr_private_segment_size 0
		.amdhsa_wavefront_size32 1
		.amdhsa_uses_dynamic_stack 0
		.amdhsa_system_sgpr_private_segment_wavefront_offset 0
		.amdhsa_system_sgpr_workgroup_id_x 1
		.amdhsa_system_sgpr_workgroup_id_y 0
		.amdhsa_system_sgpr_workgroup_id_z 0
		.amdhsa_system_sgpr_workgroup_info 0
		.amdhsa_system_vgpr_workitem_id 0
		.amdhsa_next_free_vgpr 37
		.amdhsa_next_free_sgpr 49
		.amdhsa_reserve_vcc 1
		.amdhsa_reserve_flat_scratch 1
		.amdhsa_float_round_mode_32 0
		.amdhsa_float_round_mode_16_64 0
		.amdhsa_float_denorm_mode_32 3
		.amdhsa_float_denorm_mode_16_64 3
		.amdhsa_dx10_clamp 1
		.amdhsa_ieee_mode 1
		.amdhsa_fp16_overflow 0
		.amdhsa_workgroup_processor_mode 1
		.amdhsa_memory_ordered 1
		.amdhsa_forward_progress 1
		.amdhsa_shared_vgpr_count 0
		.amdhsa_exception_fp_ieee_invalid_op 0
		.amdhsa_exception_fp_denorm_src 0
		.amdhsa_exception_fp_ieee_div_zero 0
		.amdhsa_exception_fp_ieee_overflow 0
		.amdhsa_exception_fp_ieee_underflow 0
		.amdhsa_exception_fp_ieee_inexact 0
		.amdhsa_exception_int_div_zero 0
	.end_amdhsa_kernel
	.section	.text._ZN7rocprim17ROCPRIM_400000_NS6detail17trampoline_kernelINS0_14default_configENS1_27scan_by_key_config_selectorImiEEZZNS1_16scan_by_key_implILNS1_25lookback_scan_determinismE0ELb0ES3_N6thrust23THRUST_200600_302600_NS18transform_iteratorI9row_indexNS9_17counting_iteratorImNS9_11use_defaultESD_SD_EESD_SD_EENS9_6detail15normal_iteratorINS9_10device_ptrIiEEEESK_iNS9_4plusIvEENS9_8equal_toIvEEiEE10hipError_tPvRmT2_T3_T4_T5_mT6_T7_P12ihipStream_tbENKUlT_T0_E_clISt17integral_constantIbLb0EES14_IbLb1EEEEDaS10_S11_EUlS10_E_NS1_11comp_targetILNS1_3genE8ELNS1_11target_archE1030ELNS1_3gpuE2ELNS1_3repE0EEENS1_30default_config_static_selectorELNS0_4arch9wavefront6targetE0EEEvT1_,"axG",@progbits,_ZN7rocprim17ROCPRIM_400000_NS6detail17trampoline_kernelINS0_14default_configENS1_27scan_by_key_config_selectorImiEEZZNS1_16scan_by_key_implILNS1_25lookback_scan_determinismE0ELb0ES3_N6thrust23THRUST_200600_302600_NS18transform_iteratorI9row_indexNS9_17counting_iteratorImNS9_11use_defaultESD_SD_EESD_SD_EENS9_6detail15normal_iteratorINS9_10device_ptrIiEEEESK_iNS9_4plusIvEENS9_8equal_toIvEEiEE10hipError_tPvRmT2_T3_T4_T5_mT6_T7_P12ihipStream_tbENKUlT_T0_E_clISt17integral_constantIbLb0EES14_IbLb1EEEEDaS10_S11_EUlS10_E_NS1_11comp_targetILNS1_3genE8ELNS1_11target_archE1030ELNS1_3gpuE2ELNS1_3repE0EEENS1_30default_config_static_selectorELNS0_4arch9wavefront6targetE0EEEvT1_,comdat
.Lfunc_end44:
	.size	_ZN7rocprim17ROCPRIM_400000_NS6detail17trampoline_kernelINS0_14default_configENS1_27scan_by_key_config_selectorImiEEZZNS1_16scan_by_key_implILNS1_25lookback_scan_determinismE0ELb0ES3_N6thrust23THRUST_200600_302600_NS18transform_iteratorI9row_indexNS9_17counting_iteratorImNS9_11use_defaultESD_SD_EESD_SD_EENS9_6detail15normal_iteratorINS9_10device_ptrIiEEEESK_iNS9_4plusIvEENS9_8equal_toIvEEiEE10hipError_tPvRmT2_T3_T4_T5_mT6_T7_P12ihipStream_tbENKUlT_T0_E_clISt17integral_constantIbLb0EES14_IbLb1EEEEDaS10_S11_EUlS10_E_NS1_11comp_targetILNS1_3genE8ELNS1_11target_archE1030ELNS1_3gpuE2ELNS1_3repE0EEENS1_30default_config_static_selectorELNS0_4arch9wavefront6targetE0EEEvT1_, .Lfunc_end44-_ZN7rocprim17ROCPRIM_400000_NS6detail17trampoline_kernelINS0_14default_configENS1_27scan_by_key_config_selectorImiEEZZNS1_16scan_by_key_implILNS1_25lookback_scan_determinismE0ELb0ES3_N6thrust23THRUST_200600_302600_NS18transform_iteratorI9row_indexNS9_17counting_iteratorImNS9_11use_defaultESD_SD_EESD_SD_EENS9_6detail15normal_iteratorINS9_10device_ptrIiEEEESK_iNS9_4plusIvEENS9_8equal_toIvEEiEE10hipError_tPvRmT2_T3_T4_T5_mT6_T7_P12ihipStream_tbENKUlT_T0_E_clISt17integral_constantIbLb0EES14_IbLb1EEEEDaS10_S11_EUlS10_E_NS1_11comp_targetILNS1_3genE8ELNS1_11target_archE1030ELNS1_3gpuE2ELNS1_3repE0EEENS1_30default_config_static_selectorELNS0_4arch9wavefront6targetE0EEEvT1_
                                        ; -- End function
	.set _ZN7rocprim17ROCPRIM_400000_NS6detail17trampoline_kernelINS0_14default_configENS1_27scan_by_key_config_selectorImiEEZZNS1_16scan_by_key_implILNS1_25lookback_scan_determinismE0ELb0ES3_N6thrust23THRUST_200600_302600_NS18transform_iteratorI9row_indexNS9_17counting_iteratorImNS9_11use_defaultESD_SD_EESD_SD_EENS9_6detail15normal_iteratorINS9_10device_ptrIiEEEESK_iNS9_4plusIvEENS9_8equal_toIvEEiEE10hipError_tPvRmT2_T3_T4_T5_mT6_T7_P12ihipStream_tbENKUlT_T0_E_clISt17integral_constantIbLb0EES14_IbLb1EEEEDaS10_S11_EUlS10_E_NS1_11comp_targetILNS1_3genE8ELNS1_11target_archE1030ELNS1_3gpuE2ELNS1_3repE0EEENS1_30default_config_static_selectorELNS0_4arch9wavefront6targetE0EEEvT1_.num_vgpr, 37
	.set _ZN7rocprim17ROCPRIM_400000_NS6detail17trampoline_kernelINS0_14default_configENS1_27scan_by_key_config_selectorImiEEZZNS1_16scan_by_key_implILNS1_25lookback_scan_determinismE0ELb0ES3_N6thrust23THRUST_200600_302600_NS18transform_iteratorI9row_indexNS9_17counting_iteratorImNS9_11use_defaultESD_SD_EESD_SD_EENS9_6detail15normal_iteratorINS9_10device_ptrIiEEEESK_iNS9_4plusIvEENS9_8equal_toIvEEiEE10hipError_tPvRmT2_T3_T4_T5_mT6_T7_P12ihipStream_tbENKUlT_T0_E_clISt17integral_constantIbLb0EES14_IbLb1EEEEDaS10_S11_EUlS10_E_NS1_11comp_targetILNS1_3genE8ELNS1_11target_archE1030ELNS1_3gpuE2ELNS1_3repE0EEENS1_30default_config_static_selectorELNS0_4arch9wavefront6targetE0EEEvT1_.num_agpr, 0
	.set _ZN7rocprim17ROCPRIM_400000_NS6detail17trampoline_kernelINS0_14default_configENS1_27scan_by_key_config_selectorImiEEZZNS1_16scan_by_key_implILNS1_25lookback_scan_determinismE0ELb0ES3_N6thrust23THRUST_200600_302600_NS18transform_iteratorI9row_indexNS9_17counting_iteratorImNS9_11use_defaultESD_SD_EESD_SD_EENS9_6detail15normal_iteratorINS9_10device_ptrIiEEEESK_iNS9_4plusIvEENS9_8equal_toIvEEiEE10hipError_tPvRmT2_T3_T4_T5_mT6_T7_P12ihipStream_tbENKUlT_T0_E_clISt17integral_constantIbLb0EES14_IbLb1EEEEDaS10_S11_EUlS10_E_NS1_11comp_targetILNS1_3genE8ELNS1_11target_archE1030ELNS1_3gpuE2ELNS1_3repE0EEENS1_30default_config_static_selectorELNS0_4arch9wavefront6targetE0EEEvT1_.numbered_sgpr, 49
	.set _ZN7rocprim17ROCPRIM_400000_NS6detail17trampoline_kernelINS0_14default_configENS1_27scan_by_key_config_selectorImiEEZZNS1_16scan_by_key_implILNS1_25lookback_scan_determinismE0ELb0ES3_N6thrust23THRUST_200600_302600_NS18transform_iteratorI9row_indexNS9_17counting_iteratorImNS9_11use_defaultESD_SD_EESD_SD_EENS9_6detail15normal_iteratorINS9_10device_ptrIiEEEESK_iNS9_4plusIvEENS9_8equal_toIvEEiEE10hipError_tPvRmT2_T3_T4_T5_mT6_T7_P12ihipStream_tbENKUlT_T0_E_clISt17integral_constantIbLb0EES14_IbLb1EEEEDaS10_S11_EUlS10_E_NS1_11comp_targetILNS1_3genE8ELNS1_11target_archE1030ELNS1_3gpuE2ELNS1_3repE0EEENS1_30default_config_static_selectorELNS0_4arch9wavefront6targetE0EEEvT1_.num_named_barrier, 0
	.set _ZN7rocprim17ROCPRIM_400000_NS6detail17trampoline_kernelINS0_14default_configENS1_27scan_by_key_config_selectorImiEEZZNS1_16scan_by_key_implILNS1_25lookback_scan_determinismE0ELb0ES3_N6thrust23THRUST_200600_302600_NS18transform_iteratorI9row_indexNS9_17counting_iteratorImNS9_11use_defaultESD_SD_EESD_SD_EENS9_6detail15normal_iteratorINS9_10device_ptrIiEEEESK_iNS9_4plusIvEENS9_8equal_toIvEEiEE10hipError_tPvRmT2_T3_T4_T5_mT6_T7_P12ihipStream_tbENKUlT_T0_E_clISt17integral_constantIbLb0EES14_IbLb1EEEEDaS10_S11_EUlS10_E_NS1_11comp_targetILNS1_3genE8ELNS1_11target_archE1030ELNS1_3gpuE2ELNS1_3repE0EEENS1_30default_config_static_selectorELNS0_4arch9wavefront6targetE0EEEvT1_.private_seg_size, 0
	.set _ZN7rocprim17ROCPRIM_400000_NS6detail17trampoline_kernelINS0_14default_configENS1_27scan_by_key_config_selectorImiEEZZNS1_16scan_by_key_implILNS1_25lookback_scan_determinismE0ELb0ES3_N6thrust23THRUST_200600_302600_NS18transform_iteratorI9row_indexNS9_17counting_iteratorImNS9_11use_defaultESD_SD_EESD_SD_EENS9_6detail15normal_iteratorINS9_10device_ptrIiEEEESK_iNS9_4plusIvEENS9_8equal_toIvEEiEE10hipError_tPvRmT2_T3_T4_T5_mT6_T7_P12ihipStream_tbENKUlT_T0_E_clISt17integral_constantIbLb0EES14_IbLb1EEEEDaS10_S11_EUlS10_E_NS1_11comp_targetILNS1_3genE8ELNS1_11target_archE1030ELNS1_3gpuE2ELNS1_3repE0EEENS1_30default_config_static_selectorELNS0_4arch9wavefront6targetE0EEEvT1_.uses_vcc, 1
	.set _ZN7rocprim17ROCPRIM_400000_NS6detail17trampoline_kernelINS0_14default_configENS1_27scan_by_key_config_selectorImiEEZZNS1_16scan_by_key_implILNS1_25lookback_scan_determinismE0ELb0ES3_N6thrust23THRUST_200600_302600_NS18transform_iteratorI9row_indexNS9_17counting_iteratorImNS9_11use_defaultESD_SD_EESD_SD_EENS9_6detail15normal_iteratorINS9_10device_ptrIiEEEESK_iNS9_4plusIvEENS9_8equal_toIvEEiEE10hipError_tPvRmT2_T3_T4_T5_mT6_T7_P12ihipStream_tbENKUlT_T0_E_clISt17integral_constantIbLb0EES14_IbLb1EEEEDaS10_S11_EUlS10_E_NS1_11comp_targetILNS1_3genE8ELNS1_11target_archE1030ELNS1_3gpuE2ELNS1_3repE0EEENS1_30default_config_static_selectorELNS0_4arch9wavefront6targetE0EEEvT1_.uses_flat_scratch, 1
	.set _ZN7rocprim17ROCPRIM_400000_NS6detail17trampoline_kernelINS0_14default_configENS1_27scan_by_key_config_selectorImiEEZZNS1_16scan_by_key_implILNS1_25lookback_scan_determinismE0ELb0ES3_N6thrust23THRUST_200600_302600_NS18transform_iteratorI9row_indexNS9_17counting_iteratorImNS9_11use_defaultESD_SD_EESD_SD_EENS9_6detail15normal_iteratorINS9_10device_ptrIiEEEESK_iNS9_4plusIvEENS9_8equal_toIvEEiEE10hipError_tPvRmT2_T3_T4_T5_mT6_T7_P12ihipStream_tbENKUlT_T0_E_clISt17integral_constantIbLb0EES14_IbLb1EEEEDaS10_S11_EUlS10_E_NS1_11comp_targetILNS1_3genE8ELNS1_11target_archE1030ELNS1_3gpuE2ELNS1_3repE0EEENS1_30default_config_static_selectorELNS0_4arch9wavefront6targetE0EEEvT1_.has_dyn_sized_stack, 0
	.set _ZN7rocprim17ROCPRIM_400000_NS6detail17trampoline_kernelINS0_14default_configENS1_27scan_by_key_config_selectorImiEEZZNS1_16scan_by_key_implILNS1_25lookback_scan_determinismE0ELb0ES3_N6thrust23THRUST_200600_302600_NS18transform_iteratorI9row_indexNS9_17counting_iteratorImNS9_11use_defaultESD_SD_EESD_SD_EENS9_6detail15normal_iteratorINS9_10device_ptrIiEEEESK_iNS9_4plusIvEENS9_8equal_toIvEEiEE10hipError_tPvRmT2_T3_T4_T5_mT6_T7_P12ihipStream_tbENKUlT_T0_E_clISt17integral_constantIbLb0EES14_IbLb1EEEEDaS10_S11_EUlS10_E_NS1_11comp_targetILNS1_3genE8ELNS1_11target_archE1030ELNS1_3gpuE2ELNS1_3repE0EEENS1_30default_config_static_selectorELNS0_4arch9wavefront6targetE0EEEvT1_.has_recursion, 0
	.set _ZN7rocprim17ROCPRIM_400000_NS6detail17trampoline_kernelINS0_14default_configENS1_27scan_by_key_config_selectorImiEEZZNS1_16scan_by_key_implILNS1_25lookback_scan_determinismE0ELb0ES3_N6thrust23THRUST_200600_302600_NS18transform_iteratorI9row_indexNS9_17counting_iteratorImNS9_11use_defaultESD_SD_EESD_SD_EENS9_6detail15normal_iteratorINS9_10device_ptrIiEEEESK_iNS9_4plusIvEENS9_8equal_toIvEEiEE10hipError_tPvRmT2_T3_T4_T5_mT6_T7_P12ihipStream_tbENKUlT_T0_E_clISt17integral_constantIbLb0EES14_IbLb1EEEEDaS10_S11_EUlS10_E_NS1_11comp_targetILNS1_3genE8ELNS1_11target_archE1030ELNS1_3gpuE2ELNS1_3repE0EEENS1_30default_config_static_selectorELNS0_4arch9wavefront6targetE0EEEvT1_.has_indirect_call, 0
	.section	.AMDGPU.csdata,"",@progbits
; Kernel info:
; codeLenInByte = 14052
; TotalNumSgprs: 51
; NumVgprs: 37
; ScratchSize: 0
; MemoryBound: 0
; FloatMode: 240
; IeeeMode: 1
; LDSByteSize: 10240 bytes/workgroup (compile time only)
; SGPRBlocks: 0
; VGPRBlocks: 4
; NumSGPRsForWavesPerEU: 51
; NumVGPRsForWavesPerEU: 37
; Occupancy: 16
; WaveLimiterHint : 1
; COMPUTE_PGM_RSRC2:SCRATCH_EN: 0
; COMPUTE_PGM_RSRC2:USER_SGPR: 6
; COMPUTE_PGM_RSRC2:TRAP_HANDLER: 0
; COMPUTE_PGM_RSRC2:TGID_X_EN: 1
; COMPUTE_PGM_RSRC2:TGID_Y_EN: 0
; COMPUTE_PGM_RSRC2:TGID_Z_EN: 0
; COMPUTE_PGM_RSRC2:TIDIG_COMP_CNT: 0
	.section	.text._ZN6thrust23THRUST_200600_302600_NS11hip_rocprim14__parallel_for6kernelILj256ENS1_11__transform17unary_transform_fINS0_20permutation_iteratorINS0_6detail15normal_iteratorINS0_10device_ptrIiEEEENS0_18transform_iteratorI15transpose_indexNS0_17counting_iteratorImNS0_11use_defaultESF_SF_EESF_SF_EEEESB_NS4_14no_stencil_tagENS1_8identityENS4_21always_true_predicateEEExLj1EEEvT0_T1_SO_,"axG",@progbits,_ZN6thrust23THRUST_200600_302600_NS11hip_rocprim14__parallel_for6kernelILj256ENS1_11__transform17unary_transform_fINS0_20permutation_iteratorINS0_6detail15normal_iteratorINS0_10device_ptrIiEEEENS0_18transform_iteratorI15transpose_indexNS0_17counting_iteratorImNS0_11use_defaultESF_SF_EESF_SF_EEEESB_NS4_14no_stencil_tagENS1_8identityENS4_21always_true_predicateEEExLj1EEEvT0_T1_SO_,comdat
	.protected	_ZN6thrust23THRUST_200600_302600_NS11hip_rocprim14__parallel_for6kernelILj256ENS1_11__transform17unary_transform_fINS0_20permutation_iteratorINS0_6detail15normal_iteratorINS0_10device_ptrIiEEEENS0_18transform_iteratorI15transpose_indexNS0_17counting_iteratorImNS0_11use_defaultESF_SF_EESF_SF_EEEESB_NS4_14no_stencil_tagENS1_8identityENS4_21always_true_predicateEEExLj1EEEvT0_T1_SO_ ; -- Begin function _ZN6thrust23THRUST_200600_302600_NS11hip_rocprim14__parallel_for6kernelILj256ENS1_11__transform17unary_transform_fINS0_20permutation_iteratorINS0_6detail15normal_iteratorINS0_10device_ptrIiEEEENS0_18transform_iteratorI15transpose_indexNS0_17counting_iteratorImNS0_11use_defaultESF_SF_EESF_SF_EEEESB_NS4_14no_stencil_tagENS1_8identityENS4_21always_true_predicateEEExLj1EEEvT0_T1_SO_
	.globl	_ZN6thrust23THRUST_200600_302600_NS11hip_rocprim14__parallel_for6kernelILj256ENS1_11__transform17unary_transform_fINS0_20permutation_iteratorINS0_6detail15normal_iteratorINS0_10device_ptrIiEEEENS0_18transform_iteratorI15transpose_indexNS0_17counting_iteratorImNS0_11use_defaultESF_SF_EESF_SF_EEEESB_NS4_14no_stencil_tagENS1_8identityENS4_21always_true_predicateEEExLj1EEEvT0_T1_SO_
	.p2align	8
	.type	_ZN6thrust23THRUST_200600_302600_NS11hip_rocprim14__parallel_for6kernelILj256ENS1_11__transform17unary_transform_fINS0_20permutation_iteratorINS0_6detail15normal_iteratorINS0_10device_ptrIiEEEENS0_18transform_iteratorI15transpose_indexNS0_17counting_iteratorImNS0_11use_defaultESF_SF_EESF_SF_EEEESB_NS4_14no_stencil_tagENS1_8identityENS4_21always_true_predicateEEExLj1EEEvT0_T1_SO_,@function
_ZN6thrust23THRUST_200600_302600_NS11hip_rocprim14__parallel_for6kernelILj256ENS1_11__transform17unary_transform_fINS0_20permutation_iteratorINS0_6detail15normal_iteratorINS0_10device_ptrIiEEEENS0_18transform_iteratorI15transpose_indexNS0_17counting_iteratorImNS0_11use_defaultESF_SF_EESF_SF_EEEESB_NS4_14no_stencil_tagENS1_8identityENS4_21always_true_predicateEEExLj1EEEvT0_T1_SO_: ; @_ZN6thrust23THRUST_200600_302600_NS11hip_rocprim14__parallel_for6kernelILj256ENS1_11__transform17unary_transform_fINS0_20permutation_iteratorINS0_6detail15normal_iteratorINS0_10device_ptrIiEEEENS0_18transform_iteratorI15transpose_indexNS0_17counting_iteratorImNS0_11use_defaultESF_SF_EESF_SF_EEEESB_NS4_14no_stencil_tagENS1_8identityENS4_21always_true_predicateEEExLj1EEEvT0_T1_SO_
; %bb.0:
	s_clause 0x2
	s_load_dwordx4 s[16:19], s[4:5], 0x30
	s_load_dwordx2 s[2:3], s[4:5], 0x20
	s_load_dwordx8 s[8:15], s[4:5], 0x0
	s_lshl_b32 s0, s6, 8
	s_waitcnt lgkmcnt(0)
	s_add_u32 s1, s18, s0
	s_addc_u32 s4, s19, 0
	s_sub_u32 s6, s16, s1
	s_subb_u32 s7, s17, s4
	v_cmp_gt_i64_e64 s0, 0x100, s[6:7]
	s_and_b32 s0, s0, exec_lo
	s_cselect_b32 s5, s6, 0x100
	s_mov_b32 s0, -1
	s_cmpk_eq_i32 s5, 0x100
	s_cbranch_scc0 .LBB45_3
; %bb.1:
	s_andn2_b32 vcc_lo, exec_lo, s0
	s_cbranch_vccz .LBB45_10
.LBB45_2:
	s_endpgm
.LBB45_3:
	v_cmp_gt_u32_e32 vcc_lo, s5, v0
	s_and_saveexec_b32 s5, vcc_lo
	s_cbranch_execz .LBB45_9
; %bb.4:
	v_add_co_u32 v1, s0, s1, v0
	v_add_co_ci_u32_e64 v2, null, s4, 0, s0
	v_mov_b32_e32 v3, 0
	v_add_co_u32 v5, vcc_lo, s8, v1
	v_add_co_ci_u32_e64 v6, null, s9, v2, vcc_lo
	v_or_b32_e32 v4, s13, v6
	v_cmp_ne_u64_e32 vcc_lo, 0, v[3:4]
                                        ; implicit-def: $vgpr3_vgpr4
	s_and_saveexec_b32 s0, vcc_lo
	s_xor_b32 s6, exec_lo, s0
	s_cbranch_execz .LBB45_6
; %bb.5:
	v_cvt_f32_u32_e32 v3, s12
	v_cvt_f32_u32_e32 v4, s13
	s_sub_u32 s16, 0, s12
	s_subb_u32 s17, 0, s13
	v_fmamk_f32 v3, v4, 0x4f800000, v3
	v_rcp_f32_e32 v3, v3
	v_mul_f32_e32 v3, 0x5f7ffffc, v3
	v_mul_f32_e32 v4, 0x2f800000, v3
	v_trunc_f32_e32 v4, v4
	v_fmamk_f32 v3, v4, 0xcf800000, v3
	v_cvt_u32_f32_e32 v4, v4
	v_cvt_u32_f32_e32 v3, v3
	v_readfirstlane_b32 s0, v4
	v_readfirstlane_b32 s7, v3
	s_mul_i32 s18, s16, s0
	s_mul_hi_u32 s20, s16, s7
	s_mul_i32 s19, s17, s7
	s_add_i32 s18, s20, s18
	s_mul_i32 s21, s16, s7
	s_add_i32 s18, s18, s19
	s_mul_hi_u32 s20, s7, s21
	s_mul_i32 s23, s7, s18
	s_mul_hi_u32 s22, s0, s21
	s_mul_i32 s19, s0, s21
	s_mul_hi_u32 s21, s7, s18
	s_add_u32 s20, s20, s23
	s_addc_u32 s21, 0, s21
	s_mul_hi_u32 s24, s0, s18
	s_add_u32 s19, s20, s19
	s_mul_i32 s18, s0, s18
	s_addc_u32 s19, s21, s22
	s_addc_u32 s20, s24, 0
	s_add_u32 s18, s19, s18
	s_addc_u32 s19, 0, s20
	s_add_u32 s7, s7, s18
	s_cselect_b32 s18, -1, 0
	s_mul_hi_u32 s20, s16, s7
	s_cmp_lg_u32 s18, 0
	s_mul_i32 s18, s16, s7
	s_addc_u32 s0, s0, s19
	s_mul_i32 s17, s17, s7
	s_mul_i32 s16, s16, s0
	s_mul_hi_u32 s19, s7, s18
	s_add_i32 s16, s20, s16
	s_mul_hi_u32 s20, s0, s18
	s_add_i32 s16, s16, s17
	s_mul_i32 s17, s0, s18
	s_mul_i32 s22, s7, s16
	s_mul_hi_u32 s21, s7, s16
	s_add_u32 s19, s19, s22
	s_addc_u32 s21, 0, s21
	s_mul_hi_u32 s18, s0, s16
	s_add_u32 s17, s19, s17
	s_mul_i32 s16, s0, s16
	s_addc_u32 s17, s21, s20
	s_addc_u32 s18, s18, 0
	s_add_u32 s16, s17, s16
	s_addc_u32 s17, 0, s18
	s_add_u32 s7, s7, s16
	s_cselect_b32 s16, -1, 0
	v_mul_hi_u32 v11, v5, s7
	s_cmp_lg_u32 s16, 0
	v_mad_u64_u32 v[7:8], null, v6, s7, 0
	s_addc_u32 s0, s0, s17
	v_mad_u64_u32 v[3:4], null, v5, s0, 0
	v_mad_u64_u32 v[9:10], null, v6, s0, 0
	v_add_co_u32 v3, vcc_lo, v11, v3
	v_add_co_ci_u32_e64 v4, null, 0, v4, vcc_lo
	v_add_co_u32 v3, vcc_lo, v3, v7
	v_add_co_ci_u32_e32 v3, vcc_lo, v4, v8, vcc_lo
	v_add_co_ci_u32_e32 v4, vcc_lo, 0, v10, vcc_lo
	v_add_co_u32 v7, vcc_lo, v3, v9
	v_add_co_ci_u32_e64 v8, null, 0, v4, vcc_lo
	v_mul_lo_u32 v9, s13, v7
	v_mad_u64_u32 v[3:4], null, s12, v7, 0
	v_mul_lo_u32 v10, s12, v8
	v_sub_co_u32 v3, vcc_lo, v5, v3
	v_add3_u32 v4, v4, v10, v9
	v_add_co_u32 v10, s0, v7, 2
	v_add_co_ci_u32_e64 v11, null, 0, v8, s0
	v_sub_nc_u32_e32 v9, v6, v4
	v_sub_co_u32 v12, s0, v3, s12
	v_sub_co_ci_u32_e64 v4, null, v6, v4, vcc_lo
	v_subrev_co_ci_u32_e64 v9, null, s13, v9, vcc_lo
	v_cmp_le_u32_e32 vcc_lo, s12, v12
	v_subrev_co_ci_u32_e64 v9, null, 0, v9, s0
	v_cndmask_b32_e64 v12, 0, -1, vcc_lo
	v_cmp_eq_u32_e64 s0, s13, v4
	v_cmp_le_u32_e32 vcc_lo, s13, v9
	v_cndmask_b32_e64 v13, 0, -1, vcc_lo
	v_cmp_le_u32_e32 vcc_lo, s12, v3
	v_cndmask_b32_e64 v3, 0, -1, vcc_lo
	;; [unrolled: 2-line block ×3, first 2 shown]
	v_cmp_eq_u32_e32 vcc_lo, s13, v9
	v_cndmask_b32_e64 v3, v14, v3, s0
	v_cndmask_b32_e32 v9, v13, v12, vcc_lo
	v_add_co_u32 v12, vcc_lo, v7, 1
	v_add_co_ci_u32_e64 v13, null, 0, v8, vcc_lo
	v_cmp_ne_u32_e32 vcc_lo, 0, v9
	v_cndmask_b32_e32 v4, v13, v11, vcc_lo
	v_cndmask_b32_e32 v9, v12, v10, vcc_lo
	v_cmp_ne_u32_e32 vcc_lo, 0, v3
	v_cndmask_b32_e32 v4, v8, v4, vcc_lo
	v_cndmask_b32_e32 v3, v7, v9, vcc_lo
.LBB45_6:
	s_andn2_saveexec_b32 s0, s6
	s_cbranch_execz .LBB45_8
; %bb.7:
	v_cvt_f32_u32_e32 v3, s12
	s_sub_i32 s6, 0, s12
	v_rcp_iflag_f32_e32 v3, v3
	v_mul_f32_e32 v3, 0x4f7ffffe, v3
	v_cvt_u32_f32_e32 v3, v3
	v_mul_lo_u32 v4, s6, v3
	v_mul_hi_u32 v4, v3, v4
	v_add_nc_u32_e32 v3, v3, v4
	v_mul_hi_u32 v3, v5, v3
	v_mul_lo_u32 v4, v3, s12
	v_add_nc_u32_e32 v7, 1, v3
	v_sub_nc_u32_e32 v4, v5, v4
	v_subrev_nc_u32_e32 v8, s12, v4
	v_cmp_le_u32_e32 vcc_lo, s12, v4
	v_cndmask_b32_e32 v4, v4, v8, vcc_lo
	v_cndmask_b32_e32 v3, v3, v7, vcc_lo
	v_cmp_le_u32_e32 vcc_lo, s12, v4
	v_add_nc_u32_e32 v7, 1, v3
	v_mov_b32_e32 v4, 0
	v_cndmask_b32_e32 v3, v3, v7, vcc_lo
.LBB45_8:
	s_or_b32 exec_lo, exec_lo, s0
	v_mul_lo_u32 v9, v4, s12
	v_mul_lo_u32 v10, v3, s13
	v_mad_u64_u32 v[7:8], null, v3, s12, 0
	v_lshlrev_b64 v[3:4], 2, v[3:4]
	v_lshlrev_b64 v[1:2], 2, v[1:2]
	v_add3_u32 v8, v8, v10, v9
	v_sub_co_u32 v5, vcc_lo, v5, v7
	v_sub_co_ci_u32_e64 v7, null, v6, v8, vcc_lo
	v_mul_lo_u32 v8, v5, s11
	v_mad_u64_u32 v[5:6], null, v5, s10, 0
	v_mul_lo_u32 v7, v7, s10
	v_add3_u32 v6, v6, v8, v7
	v_lshlrev_b64 v[5:6], 2, v[5:6]
	v_add_co_u32 v5, vcc_lo, s14, v5
	v_add_co_ci_u32_e64 v6, null, s15, v6, vcc_lo
	v_add_co_u32 v3, vcc_lo, v5, v3
	v_add_co_ci_u32_e64 v4, null, v6, v4, vcc_lo
	;; [unrolled: 2-line block ×3, first 2 shown]
	global_load_dword v3, v[3:4], off
	s_waitcnt vmcnt(0)
	flat_store_dword v[1:2], v3
.LBB45_9:
	s_or_b32 exec_lo, exec_lo, s5
	s_cbranch_execnz .LBB45_2
.LBB45_10:
	v_add_co_u32 v0, s0, s1, v0
	v_add_co_ci_u32_e64 v1, null, s4, 0, s0
	v_mov_b32_e32 v2, 0
	v_add_co_u32 v4, vcc_lo, s8, v0
	v_add_co_ci_u32_e64 v5, null, s9, v1, vcc_lo
	v_or_b32_e32 v3, s13, v5
	v_cmp_ne_u64_e32 vcc_lo, 0, v[2:3]
                                        ; implicit-def: $vgpr2_vgpr3
	s_and_saveexec_b32 s0, vcc_lo
	s_xor_b32 s1, exec_lo, s0
	s_cbranch_execz .LBB45_12
; %bb.11:
	v_cvt_f32_u32_e32 v2, s12
	v_cvt_f32_u32_e32 v3, s13
	s_sub_u32 s5, 0, s12
	s_subb_u32 s6, 0, s13
	v_fmamk_f32 v2, v3, 0x4f800000, v2
	v_rcp_f32_e32 v2, v2
	v_mul_f32_e32 v2, 0x5f7ffffc, v2
	v_mul_f32_e32 v3, 0x2f800000, v2
	v_trunc_f32_e32 v3, v3
	v_fmamk_f32 v2, v3, 0xcf800000, v2
	v_cvt_u32_f32_e32 v3, v3
	v_cvt_u32_f32_e32 v2, v2
	v_readfirstlane_b32 s0, v3
	v_readfirstlane_b32 s4, v2
	s_mul_i32 s7, s5, s0
	s_mul_hi_u32 s9, s5, s4
	s_mul_i32 s8, s6, s4
	s_add_i32 s7, s9, s7
	s_mul_i32 s16, s5, s4
	s_add_i32 s7, s7, s8
	s_mul_hi_u32 s9, s4, s16
	s_mul_i32 s18, s4, s7
	s_mul_hi_u32 s17, s0, s16
	s_mul_i32 s8, s0, s16
	s_mul_hi_u32 s16, s4, s7
	s_add_u32 s9, s9, s18
	s_addc_u32 s16, 0, s16
	s_mul_hi_u32 s19, s0, s7
	s_add_u32 s8, s9, s8
	s_mul_i32 s7, s0, s7
	s_addc_u32 s8, s16, s17
	s_addc_u32 s9, s19, 0
	s_add_u32 s7, s8, s7
	s_addc_u32 s8, 0, s9
	s_add_u32 s4, s4, s7
	s_cselect_b32 s7, -1, 0
	s_mul_hi_u32 s9, s5, s4
	s_cmp_lg_u32 s7, 0
	s_mul_i32 s7, s5, s4
	s_addc_u32 s0, s0, s8
	s_mul_i32 s6, s6, s4
	s_mul_i32 s5, s5, s0
	s_mul_hi_u32 s8, s4, s7
	s_add_i32 s5, s9, s5
	s_mul_hi_u32 s9, s0, s7
	s_add_i32 s5, s5, s6
	s_mul_i32 s6, s0, s7
	s_mul_i32 s17, s4, s5
	s_mul_hi_u32 s16, s4, s5
	s_add_u32 s8, s8, s17
	s_addc_u32 s16, 0, s16
	s_mul_hi_u32 s7, s0, s5
	s_add_u32 s6, s8, s6
	s_mul_i32 s5, s0, s5
	s_addc_u32 s6, s16, s9
	s_addc_u32 s7, s7, 0
	s_add_u32 s5, s6, s5
	s_addc_u32 s6, 0, s7
	s_add_u32 s4, s4, s5
	s_cselect_b32 s5, -1, 0
	v_mul_hi_u32 v10, v4, s4
	s_cmp_lg_u32 s5, 0
	v_mad_u64_u32 v[6:7], null, v5, s4, 0
	s_addc_u32 s0, s0, s6
	v_mad_u64_u32 v[2:3], null, v4, s0, 0
	v_mad_u64_u32 v[8:9], null, v5, s0, 0
	v_add_co_u32 v2, vcc_lo, v10, v2
	v_add_co_ci_u32_e64 v3, null, 0, v3, vcc_lo
	v_add_co_u32 v2, vcc_lo, v2, v6
	v_add_co_ci_u32_e32 v2, vcc_lo, v3, v7, vcc_lo
	v_add_co_ci_u32_e32 v3, vcc_lo, 0, v9, vcc_lo
	v_add_co_u32 v6, vcc_lo, v2, v8
	v_add_co_ci_u32_e64 v7, null, 0, v3, vcc_lo
	v_mul_lo_u32 v8, s13, v6
	v_mad_u64_u32 v[2:3], null, s12, v6, 0
	v_mul_lo_u32 v9, s12, v7
	v_sub_co_u32 v2, vcc_lo, v4, v2
	v_add3_u32 v3, v3, v9, v8
	v_add_co_u32 v9, s0, v6, 2
	v_add_co_ci_u32_e64 v10, null, 0, v7, s0
	v_sub_nc_u32_e32 v8, v5, v3
	v_sub_co_u32 v11, s0, v2, s12
	v_sub_co_ci_u32_e64 v3, null, v5, v3, vcc_lo
	v_subrev_co_ci_u32_e64 v8, null, s13, v8, vcc_lo
	v_cmp_le_u32_e32 vcc_lo, s12, v11
	v_subrev_co_ci_u32_e64 v8, null, 0, v8, s0
	v_cndmask_b32_e64 v11, 0, -1, vcc_lo
	v_cmp_eq_u32_e64 s0, s13, v3
	v_cmp_le_u32_e32 vcc_lo, s13, v8
	v_cndmask_b32_e64 v12, 0, -1, vcc_lo
	v_cmp_le_u32_e32 vcc_lo, s12, v2
	v_cndmask_b32_e64 v2, 0, -1, vcc_lo
	;; [unrolled: 2-line block ×3, first 2 shown]
	v_cmp_eq_u32_e32 vcc_lo, s13, v8
	v_cndmask_b32_e64 v2, v13, v2, s0
	v_cndmask_b32_e32 v8, v12, v11, vcc_lo
	v_add_co_u32 v11, vcc_lo, v6, 1
	v_add_co_ci_u32_e64 v12, null, 0, v7, vcc_lo
	v_cmp_ne_u32_e32 vcc_lo, 0, v8
	v_cndmask_b32_e32 v3, v12, v10, vcc_lo
	v_cndmask_b32_e32 v8, v11, v9, vcc_lo
	v_cmp_ne_u32_e32 vcc_lo, 0, v2
	v_cndmask_b32_e32 v3, v7, v3, vcc_lo
	v_cndmask_b32_e32 v2, v6, v8, vcc_lo
.LBB45_12:
	s_andn2_saveexec_b32 s0, s1
	s_cbranch_execz .LBB45_14
; %bb.13:
	v_cvt_f32_u32_e32 v2, s12
	s_sub_i32 s1, 0, s12
	v_rcp_iflag_f32_e32 v2, v2
	v_mul_f32_e32 v2, 0x4f7ffffe, v2
	v_cvt_u32_f32_e32 v2, v2
	v_mul_lo_u32 v3, s1, v2
	v_mul_hi_u32 v3, v2, v3
	v_add_nc_u32_e32 v2, v2, v3
	v_mul_hi_u32 v2, v4, v2
	v_mul_lo_u32 v3, v2, s12
	v_add_nc_u32_e32 v6, 1, v2
	v_sub_nc_u32_e32 v3, v4, v3
	v_subrev_nc_u32_e32 v7, s12, v3
	v_cmp_le_u32_e32 vcc_lo, s12, v3
	v_cndmask_b32_e32 v3, v3, v7, vcc_lo
	v_cndmask_b32_e32 v2, v2, v6, vcc_lo
	v_cmp_le_u32_e32 vcc_lo, s12, v3
	v_add_nc_u32_e32 v6, 1, v2
	v_mov_b32_e32 v3, 0
	v_cndmask_b32_e32 v2, v2, v6, vcc_lo
.LBB45_14:
	s_or_b32 exec_lo, exec_lo, s0
	v_mul_lo_u32 v8, v3, s12
	v_mul_lo_u32 v9, v2, s13
	v_mad_u64_u32 v[6:7], null, v2, s12, 0
	v_lshlrev_b64 v[2:3], 2, v[2:3]
	v_lshlrev_b64 v[0:1], 2, v[0:1]
	v_add3_u32 v7, v7, v9, v8
	v_sub_co_u32 v4, vcc_lo, v4, v6
	v_sub_co_ci_u32_e64 v6, null, v5, v7, vcc_lo
	v_mul_lo_u32 v7, v4, s11
	v_mad_u64_u32 v[4:5], null, v4, s10, 0
	v_mul_lo_u32 v6, v6, s10
	v_add3_u32 v5, v5, v7, v6
	v_lshlrev_b64 v[4:5], 2, v[4:5]
	v_add_co_u32 v4, vcc_lo, s14, v4
	v_add_co_ci_u32_e64 v5, null, s15, v5, vcc_lo
	v_add_co_u32 v2, vcc_lo, v4, v2
	v_add_co_ci_u32_e64 v3, null, v5, v3, vcc_lo
	;; [unrolled: 2-line block ×3, first 2 shown]
	global_load_dword v2, v[2:3], off
	s_waitcnt vmcnt(0)
	flat_store_dword v[0:1], v2
	s_endpgm
	.section	.rodata,"a",@progbits
	.p2align	6, 0x0
	.amdhsa_kernel _ZN6thrust23THRUST_200600_302600_NS11hip_rocprim14__parallel_for6kernelILj256ENS1_11__transform17unary_transform_fINS0_20permutation_iteratorINS0_6detail15normal_iteratorINS0_10device_ptrIiEEEENS0_18transform_iteratorI15transpose_indexNS0_17counting_iteratorImNS0_11use_defaultESF_SF_EESF_SF_EEEESB_NS4_14no_stencil_tagENS1_8identityENS4_21always_true_predicateEEExLj1EEEvT0_T1_SO_
		.amdhsa_group_segment_fixed_size 0
		.amdhsa_private_segment_fixed_size 0
		.amdhsa_kernarg_size 64
		.amdhsa_user_sgpr_count 6
		.amdhsa_user_sgpr_private_segment_buffer 1
		.amdhsa_user_sgpr_dispatch_ptr 0
		.amdhsa_user_sgpr_queue_ptr 0
		.amdhsa_user_sgpr_kernarg_segment_ptr 1
		.amdhsa_user_sgpr_dispatch_id 0
		.amdhsa_user_sgpr_flat_scratch_init 0
		.amdhsa_user_sgpr_private_segment_size 0
		.amdhsa_wavefront_size32 1
		.amdhsa_uses_dynamic_stack 0
		.amdhsa_system_sgpr_private_segment_wavefront_offset 0
		.amdhsa_system_sgpr_workgroup_id_x 1
		.amdhsa_system_sgpr_workgroup_id_y 0
		.amdhsa_system_sgpr_workgroup_id_z 0
		.amdhsa_system_sgpr_workgroup_info 0
		.amdhsa_system_vgpr_workitem_id 0
		.amdhsa_next_free_vgpr 15
		.amdhsa_next_free_sgpr 25
		.amdhsa_reserve_vcc 1
		.amdhsa_reserve_flat_scratch 0
		.amdhsa_float_round_mode_32 0
		.amdhsa_float_round_mode_16_64 0
		.amdhsa_float_denorm_mode_32 3
		.amdhsa_float_denorm_mode_16_64 3
		.amdhsa_dx10_clamp 1
		.amdhsa_ieee_mode 1
		.amdhsa_fp16_overflow 0
		.amdhsa_workgroup_processor_mode 1
		.amdhsa_memory_ordered 1
		.amdhsa_forward_progress 1
		.amdhsa_shared_vgpr_count 0
		.amdhsa_exception_fp_ieee_invalid_op 0
		.amdhsa_exception_fp_denorm_src 0
		.amdhsa_exception_fp_ieee_div_zero 0
		.amdhsa_exception_fp_ieee_overflow 0
		.amdhsa_exception_fp_ieee_underflow 0
		.amdhsa_exception_fp_ieee_inexact 0
		.amdhsa_exception_int_div_zero 0
	.end_amdhsa_kernel
	.section	.text._ZN6thrust23THRUST_200600_302600_NS11hip_rocprim14__parallel_for6kernelILj256ENS1_11__transform17unary_transform_fINS0_20permutation_iteratorINS0_6detail15normal_iteratorINS0_10device_ptrIiEEEENS0_18transform_iteratorI15transpose_indexNS0_17counting_iteratorImNS0_11use_defaultESF_SF_EESF_SF_EEEESB_NS4_14no_stencil_tagENS1_8identityENS4_21always_true_predicateEEExLj1EEEvT0_T1_SO_,"axG",@progbits,_ZN6thrust23THRUST_200600_302600_NS11hip_rocprim14__parallel_for6kernelILj256ENS1_11__transform17unary_transform_fINS0_20permutation_iteratorINS0_6detail15normal_iteratorINS0_10device_ptrIiEEEENS0_18transform_iteratorI15transpose_indexNS0_17counting_iteratorImNS0_11use_defaultESF_SF_EESF_SF_EEEESB_NS4_14no_stencil_tagENS1_8identityENS4_21always_true_predicateEEExLj1EEEvT0_T1_SO_,comdat
.Lfunc_end45:
	.size	_ZN6thrust23THRUST_200600_302600_NS11hip_rocprim14__parallel_for6kernelILj256ENS1_11__transform17unary_transform_fINS0_20permutation_iteratorINS0_6detail15normal_iteratorINS0_10device_ptrIiEEEENS0_18transform_iteratorI15transpose_indexNS0_17counting_iteratorImNS0_11use_defaultESF_SF_EESF_SF_EEEESB_NS4_14no_stencil_tagENS1_8identityENS4_21always_true_predicateEEExLj1EEEvT0_T1_SO_, .Lfunc_end45-_ZN6thrust23THRUST_200600_302600_NS11hip_rocprim14__parallel_for6kernelILj256ENS1_11__transform17unary_transform_fINS0_20permutation_iteratorINS0_6detail15normal_iteratorINS0_10device_ptrIiEEEENS0_18transform_iteratorI15transpose_indexNS0_17counting_iteratorImNS0_11use_defaultESF_SF_EESF_SF_EEEESB_NS4_14no_stencil_tagENS1_8identityENS4_21always_true_predicateEEExLj1EEEvT0_T1_SO_
                                        ; -- End function
	.set _ZN6thrust23THRUST_200600_302600_NS11hip_rocprim14__parallel_for6kernelILj256ENS1_11__transform17unary_transform_fINS0_20permutation_iteratorINS0_6detail15normal_iteratorINS0_10device_ptrIiEEEENS0_18transform_iteratorI15transpose_indexNS0_17counting_iteratorImNS0_11use_defaultESF_SF_EESF_SF_EEEESB_NS4_14no_stencil_tagENS1_8identityENS4_21always_true_predicateEEExLj1EEEvT0_T1_SO_.num_vgpr, 15
	.set _ZN6thrust23THRUST_200600_302600_NS11hip_rocprim14__parallel_for6kernelILj256ENS1_11__transform17unary_transform_fINS0_20permutation_iteratorINS0_6detail15normal_iteratorINS0_10device_ptrIiEEEENS0_18transform_iteratorI15transpose_indexNS0_17counting_iteratorImNS0_11use_defaultESF_SF_EESF_SF_EEEESB_NS4_14no_stencil_tagENS1_8identityENS4_21always_true_predicateEEExLj1EEEvT0_T1_SO_.num_agpr, 0
	.set _ZN6thrust23THRUST_200600_302600_NS11hip_rocprim14__parallel_for6kernelILj256ENS1_11__transform17unary_transform_fINS0_20permutation_iteratorINS0_6detail15normal_iteratorINS0_10device_ptrIiEEEENS0_18transform_iteratorI15transpose_indexNS0_17counting_iteratorImNS0_11use_defaultESF_SF_EESF_SF_EEEESB_NS4_14no_stencil_tagENS1_8identityENS4_21always_true_predicateEEExLj1EEEvT0_T1_SO_.numbered_sgpr, 25
	.set _ZN6thrust23THRUST_200600_302600_NS11hip_rocprim14__parallel_for6kernelILj256ENS1_11__transform17unary_transform_fINS0_20permutation_iteratorINS0_6detail15normal_iteratorINS0_10device_ptrIiEEEENS0_18transform_iteratorI15transpose_indexNS0_17counting_iteratorImNS0_11use_defaultESF_SF_EESF_SF_EEEESB_NS4_14no_stencil_tagENS1_8identityENS4_21always_true_predicateEEExLj1EEEvT0_T1_SO_.num_named_barrier, 0
	.set _ZN6thrust23THRUST_200600_302600_NS11hip_rocprim14__parallel_for6kernelILj256ENS1_11__transform17unary_transform_fINS0_20permutation_iteratorINS0_6detail15normal_iteratorINS0_10device_ptrIiEEEENS0_18transform_iteratorI15transpose_indexNS0_17counting_iteratorImNS0_11use_defaultESF_SF_EESF_SF_EEEESB_NS4_14no_stencil_tagENS1_8identityENS4_21always_true_predicateEEExLj1EEEvT0_T1_SO_.private_seg_size, 0
	.set _ZN6thrust23THRUST_200600_302600_NS11hip_rocprim14__parallel_for6kernelILj256ENS1_11__transform17unary_transform_fINS0_20permutation_iteratorINS0_6detail15normal_iteratorINS0_10device_ptrIiEEEENS0_18transform_iteratorI15transpose_indexNS0_17counting_iteratorImNS0_11use_defaultESF_SF_EESF_SF_EEEESB_NS4_14no_stencil_tagENS1_8identityENS4_21always_true_predicateEEExLj1EEEvT0_T1_SO_.uses_vcc, 1
	.set _ZN6thrust23THRUST_200600_302600_NS11hip_rocprim14__parallel_for6kernelILj256ENS1_11__transform17unary_transform_fINS0_20permutation_iteratorINS0_6detail15normal_iteratorINS0_10device_ptrIiEEEENS0_18transform_iteratorI15transpose_indexNS0_17counting_iteratorImNS0_11use_defaultESF_SF_EESF_SF_EEEESB_NS4_14no_stencil_tagENS1_8identityENS4_21always_true_predicateEEExLj1EEEvT0_T1_SO_.uses_flat_scratch, 0
	.set _ZN6thrust23THRUST_200600_302600_NS11hip_rocprim14__parallel_for6kernelILj256ENS1_11__transform17unary_transform_fINS0_20permutation_iteratorINS0_6detail15normal_iteratorINS0_10device_ptrIiEEEENS0_18transform_iteratorI15transpose_indexNS0_17counting_iteratorImNS0_11use_defaultESF_SF_EESF_SF_EEEESB_NS4_14no_stencil_tagENS1_8identityENS4_21always_true_predicateEEExLj1EEEvT0_T1_SO_.has_dyn_sized_stack, 0
	.set _ZN6thrust23THRUST_200600_302600_NS11hip_rocprim14__parallel_for6kernelILj256ENS1_11__transform17unary_transform_fINS0_20permutation_iteratorINS0_6detail15normal_iteratorINS0_10device_ptrIiEEEENS0_18transform_iteratorI15transpose_indexNS0_17counting_iteratorImNS0_11use_defaultESF_SF_EESF_SF_EEEESB_NS4_14no_stencil_tagENS1_8identityENS4_21always_true_predicateEEExLj1EEEvT0_T1_SO_.has_recursion, 0
	.set _ZN6thrust23THRUST_200600_302600_NS11hip_rocprim14__parallel_for6kernelILj256ENS1_11__transform17unary_transform_fINS0_20permutation_iteratorINS0_6detail15normal_iteratorINS0_10device_ptrIiEEEENS0_18transform_iteratorI15transpose_indexNS0_17counting_iteratorImNS0_11use_defaultESF_SF_EESF_SF_EEEESB_NS4_14no_stencil_tagENS1_8identityENS4_21always_true_predicateEEExLj1EEEvT0_T1_SO_.has_indirect_call, 0
	.section	.AMDGPU.csdata,"",@progbits
; Kernel info:
; codeLenInByte = 1900
; TotalNumSgprs: 27
; NumVgprs: 15
; ScratchSize: 0
; MemoryBound: 0
; FloatMode: 240
; IeeeMode: 1
; LDSByteSize: 0 bytes/workgroup (compile time only)
; SGPRBlocks: 0
; VGPRBlocks: 1
; NumSGPRsForWavesPerEU: 27
; NumVGPRsForWavesPerEU: 15
; Occupancy: 16
; WaveLimiterHint : 0
; COMPUTE_PGM_RSRC2:SCRATCH_EN: 0
; COMPUTE_PGM_RSRC2:USER_SGPR: 6
; COMPUTE_PGM_RSRC2:TRAP_HANDLER: 0
; COMPUTE_PGM_RSRC2:TGID_X_EN: 1
; COMPUTE_PGM_RSRC2:TGID_Y_EN: 0
; COMPUTE_PGM_RSRC2:TGID_Z_EN: 0
; COMPUTE_PGM_RSRC2:TIDIG_COMP_CNT: 0
	.section	.AMDGPU.gpr_maximums,"",@progbits
	.set amdgpu.max_num_vgpr, 0
	.set amdgpu.max_num_agpr, 0
	.set amdgpu.max_num_sgpr, 0
	.section	.AMDGPU.csdata,"",@progbits
	.type	__hip_cuid_3a8f653cb3a9582d,@object ; @__hip_cuid_3a8f653cb3a9582d
	.section	.bss,"aw",@nobits
	.globl	__hip_cuid_3a8f653cb3a9582d
__hip_cuid_3a8f653cb3a9582d:
	.byte	0                               ; 0x0
	.size	__hip_cuid_3a8f653cb3a9582d, 1

	.ident	"AMD clang version 22.0.0git (https://github.com/RadeonOpenCompute/llvm-project roc-7.2.4 26084 f58b06dce1f9c15707c5f808fd002e18c2accf7e)"
	.section	".note.GNU-stack","",@progbits
	.addrsig
	.addrsig_sym __hip_cuid_3a8f653cb3a9582d
	.amdgpu_metadata
---
amdhsa.kernels:
  - .args:
      - .offset:         0
        .size:           16
        .value_kind:     by_value
      - .offset:         16
        .size:           8
        .value_kind:     by_value
      - .offset:         24
        .size:           8
        .value_kind:     by_value
    .group_segment_fixed_size: 0
    .kernarg_segment_align: 8
    .kernarg_segment_size: 32
    .language:       OpenCL C
    .language_version:
      - 2
      - 0
    .max_flat_workgroup_size: 256
    .name:           _ZN6thrust23THRUST_200600_302600_NS11hip_rocprim14__parallel_for6kernelILj256ENS1_20__uninitialized_fill7functorINS0_10device_ptrIiEEiEEmLj1EEEvT0_T1_SA_
    .private_segment_fixed_size: 0
    .sgpr_count:     14
    .sgpr_spill_count: 0
    .symbol:         _ZN6thrust23THRUST_200600_302600_NS11hip_rocprim14__parallel_for6kernelILj256ENS1_20__uninitialized_fill7functorINS0_10device_ptrIiEEiEEmLj1EEEvT0_T1_SA_.kd
    .uniform_work_group_size: 1
    .uses_dynamic_stack: false
    .vgpr_count:     4
    .vgpr_spill_count: 0
    .wavefront_size: 32
    .workgroup_processor_mode: 1
  - .args:
      - .address_space:  global
        .offset:         0
        .size:           8
        .value_kind:     global_buffer
      - .offset:         8
        .size:           4
        .value_kind:     by_value
      - .offset:         12
        .size:           4
        .value_kind:     by_value
      - .address_space:  global
        .offset:         16
        .size:           8
        .value_kind:     global_buffer
      - .offset:         24
        .size:           16
        .value_kind:     by_value
      - .actual_access:  write_only
        .address_space:  global
        .offset:         40
        .size:           8
        .value_kind:     global_buffer
      - .offset:         48
        .size:           8
        .value_kind:     by_value
      - .offset:         56
        .size:           4
        .value_kind:     by_value
      - .offset:         60
        .size:           1
        .value_kind:     by_value
      - .offset:         64
        .size:           4
        .value_kind:     hidden_block_count_x
      - .offset:         68
        .size:           4
        .value_kind:     hidden_block_count_y
      - .offset:         72
        .size:           4
        .value_kind:     hidden_block_count_z
      - .offset:         76
        .size:           2
        .value_kind:     hidden_group_size_x
      - .offset:         78
        .size:           2
        .value_kind:     hidden_group_size_y
      - .offset:         80
        .size:           2
        .value_kind:     hidden_group_size_z
      - .offset:         82
        .size:           2
        .value_kind:     hidden_remainder_x
      - .offset:         84
        .size:           2
        .value_kind:     hidden_remainder_y
      - .offset:         86
        .size:           2
        .value_kind:     hidden_remainder_z
      - .offset:         104
        .size:           8
        .value_kind:     hidden_global_offset_x
      - .offset:         112
        .size:           8
        .value_kind:     hidden_global_offset_y
      - .offset:         120
        .size:           8
        .value_kind:     hidden_global_offset_z
      - .offset:         128
        .size:           2
        .value_kind:     hidden_grid_dims
    .group_segment_fixed_size: 0
    .kernarg_segment_align: 8
    .kernarg_segment_size: 320
    .language:       OpenCL C
    .language_version:
      - 2
      - 0
    .max_flat_workgroup_size: 256
    .name:           _ZN7rocprim17ROCPRIM_400000_NS6detail30init_device_scan_by_key_kernelINS1_19lookback_scan_stateINS0_5tupleIJibEEELb0ELb1EEEN6thrust23THRUST_200600_302600_NS18transform_iteratorI9row_indexNS8_17counting_iteratorImNS8_11use_defaultESC_SC_EESC_SC_EEjNS1_16block_id_wrapperIjLb0EEEEEvT_jjPNSH_10value_typeET0_PNSt15iterator_traitsISK_E10value_typeEmT1_T2_
    .private_segment_fixed_size: 0
    .sgpr_count:     23
    .sgpr_spill_count: 0
    .symbol:         _ZN7rocprim17ROCPRIM_400000_NS6detail30init_device_scan_by_key_kernelINS1_19lookback_scan_stateINS0_5tupleIJibEEELb0ELb1EEEN6thrust23THRUST_200600_302600_NS18transform_iteratorI9row_indexNS8_17counting_iteratorImNS8_11use_defaultESC_SC_EESC_SC_EEjNS1_16block_id_wrapperIjLb0EEEEEvT_jjPNSH_10value_typeET0_PNSt15iterator_traitsISK_E10value_typeEmT1_T2_.kd
    .uniform_work_group_size: 1
    .uses_dynamic_stack: false
    .vgpr_count:     20
    .vgpr_spill_count: 0
    .wavefront_size: 32
    .workgroup_processor_mode: 1
  - .args:
      - .address_space:  global
        .offset:         0
        .size:           8
        .value_kind:     global_buffer
      - .offset:         8
        .size:           4
        .value_kind:     by_value
      - .offset:         12
        .size:           4
        .value_kind:     by_value
      - .address_space:  global
        .offset:         16
        .size:           8
        .value_kind:     global_buffer
      - .offset:         24
        .size:           1
        .value_kind:     by_value
      - .offset:         32
        .size:           4
        .value_kind:     hidden_block_count_x
      - .offset:         36
        .size:           4
        .value_kind:     hidden_block_count_y
      - .offset:         40
        .size:           4
        .value_kind:     hidden_block_count_z
      - .offset:         44
        .size:           2
        .value_kind:     hidden_group_size_x
      - .offset:         46
        .size:           2
        .value_kind:     hidden_group_size_y
      - .offset:         48
        .size:           2
        .value_kind:     hidden_group_size_z
      - .offset:         50
        .size:           2
        .value_kind:     hidden_remainder_x
      - .offset:         52
        .size:           2
        .value_kind:     hidden_remainder_y
      - .offset:         54
        .size:           2
        .value_kind:     hidden_remainder_z
      - .offset:         72
        .size:           8
        .value_kind:     hidden_global_offset_x
      - .offset:         80
        .size:           8
        .value_kind:     hidden_global_offset_y
      - .offset:         88
        .size:           8
        .value_kind:     hidden_global_offset_z
      - .offset:         96
        .size:           2
        .value_kind:     hidden_grid_dims
    .group_segment_fixed_size: 0
    .kernarg_segment_align: 8
    .kernarg_segment_size: 288
    .language:       OpenCL C
    .language_version:
      - 2
      - 0
    .max_flat_workgroup_size: 256
    .name:           _ZN7rocprim17ROCPRIM_400000_NS6detail30init_device_scan_by_key_kernelINS1_19lookback_scan_stateINS0_5tupleIJibEEELb0ELb1EEENS1_16block_id_wrapperIjLb0EEEEEvT_jjPNS9_10value_typeET0_
    .private_segment_fixed_size: 0
    .sgpr_count:     12
    .sgpr_spill_count: 0
    .symbol:         _ZN7rocprim17ROCPRIM_400000_NS6detail30init_device_scan_by_key_kernelINS1_19lookback_scan_stateINS0_5tupleIJibEEELb0ELb1EEENS1_16block_id_wrapperIjLb0EEEEEvT_jjPNS9_10value_typeET0_.kd
    .uniform_work_group_size: 1
    .uses_dynamic_stack: false
    .vgpr_count:     8
    .vgpr_spill_count: 0
    .wavefront_size: 32
    .workgroup_processor_mode: 1
  - .args:
      - .offset:         0
        .size:           120
        .value_kind:     by_value
    .group_segment_fixed_size: 0
    .kernarg_segment_align: 8
    .kernarg_segment_size: 120
    .language:       OpenCL C
    .language_version:
      - 2
      - 0
    .max_flat_workgroup_size: 256
    .name:           _ZN7rocprim17ROCPRIM_400000_NS6detail17trampoline_kernelINS0_14default_configENS1_27scan_by_key_config_selectorImiEEZZNS1_16scan_by_key_implILNS1_25lookback_scan_determinismE0ELb0ES3_N6thrust23THRUST_200600_302600_NS18transform_iteratorI9row_indexNS9_17counting_iteratorImNS9_11use_defaultESD_SD_EESD_SD_EENS9_6detail15normal_iteratorINS9_10device_ptrIiEEEESK_iNS9_4plusIvEENS9_8equal_toIvEEiEE10hipError_tPvRmT2_T3_T4_T5_mT6_T7_P12ihipStream_tbENKUlT_T0_E_clISt17integral_constantIbLb0EES15_EEDaS10_S11_EUlS10_E_NS1_11comp_targetILNS1_3genE0ELNS1_11target_archE4294967295ELNS1_3gpuE0ELNS1_3repE0EEENS1_30default_config_static_selectorELNS0_4arch9wavefront6targetE0EEEvT1_
    .private_segment_fixed_size: 0
    .sgpr_count:     0
    .sgpr_spill_count: 0
    .symbol:         _ZN7rocprim17ROCPRIM_400000_NS6detail17trampoline_kernelINS0_14default_configENS1_27scan_by_key_config_selectorImiEEZZNS1_16scan_by_key_implILNS1_25lookback_scan_determinismE0ELb0ES3_N6thrust23THRUST_200600_302600_NS18transform_iteratorI9row_indexNS9_17counting_iteratorImNS9_11use_defaultESD_SD_EESD_SD_EENS9_6detail15normal_iteratorINS9_10device_ptrIiEEEESK_iNS9_4plusIvEENS9_8equal_toIvEEiEE10hipError_tPvRmT2_T3_T4_T5_mT6_T7_P12ihipStream_tbENKUlT_T0_E_clISt17integral_constantIbLb0EES15_EEDaS10_S11_EUlS10_E_NS1_11comp_targetILNS1_3genE0ELNS1_11target_archE4294967295ELNS1_3gpuE0ELNS1_3repE0EEENS1_30default_config_static_selectorELNS0_4arch9wavefront6targetE0EEEvT1_.kd
    .uniform_work_group_size: 1
    .uses_dynamic_stack: false
    .vgpr_count:     0
    .vgpr_spill_count: 0
    .wavefront_size: 32
    .workgroup_processor_mode: 1
  - .args:
      - .offset:         0
        .size:           120
        .value_kind:     by_value
    .group_segment_fixed_size: 0
    .kernarg_segment_align: 8
    .kernarg_segment_size: 120
    .language:       OpenCL C
    .language_version:
      - 2
      - 0
    .max_flat_workgroup_size: 256
    .name:           _ZN7rocprim17ROCPRIM_400000_NS6detail17trampoline_kernelINS0_14default_configENS1_27scan_by_key_config_selectorImiEEZZNS1_16scan_by_key_implILNS1_25lookback_scan_determinismE0ELb0ES3_N6thrust23THRUST_200600_302600_NS18transform_iteratorI9row_indexNS9_17counting_iteratorImNS9_11use_defaultESD_SD_EESD_SD_EENS9_6detail15normal_iteratorINS9_10device_ptrIiEEEESK_iNS9_4plusIvEENS9_8equal_toIvEEiEE10hipError_tPvRmT2_T3_T4_T5_mT6_T7_P12ihipStream_tbENKUlT_T0_E_clISt17integral_constantIbLb0EES15_EEDaS10_S11_EUlS10_E_NS1_11comp_targetILNS1_3genE10ELNS1_11target_archE1201ELNS1_3gpuE5ELNS1_3repE0EEENS1_30default_config_static_selectorELNS0_4arch9wavefront6targetE0EEEvT1_
    .private_segment_fixed_size: 0
    .sgpr_count:     0
    .sgpr_spill_count: 0
    .symbol:         _ZN7rocprim17ROCPRIM_400000_NS6detail17trampoline_kernelINS0_14default_configENS1_27scan_by_key_config_selectorImiEEZZNS1_16scan_by_key_implILNS1_25lookback_scan_determinismE0ELb0ES3_N6thrust23THRUST_200600_302600_NS18transform_iteratorI9row_indexNS9_17counting_iteratorImNS9_11use_defaultESD_SD_EESD_SD_EENS9_6detail15normal_iteratorINS9_10device_ptrIiEEEESK_iNS9_4plusIvEENS9_8equal_toIvEEiEE10hipError_tPvRmT2_T3_T4_T5_mT6_T7_P12ihipStream_tbENKUlT_T0_E_clISt17integral_constantIbLb0EES15_EEDaS10_S11_EUlS10_E_NS1_11comp_targetILNS1_3genE10ELNS1_11target_archE1201ELNS1_3gpuE5ELNS1_3repE0EEENS1_30default_config_static_selectorELNS0_4arch9wavefront6targetE0EEEvT1_.kd
    .uniform_work_group_size: 1
    .uses_dynamic_stack: false
    .vgpr_count:     0
    .vgpr_spill_count: 0
    .wavefront_size: 32
    .workgroup_processor_mode: 1
  - .args:
      - .offset:         0
        .size:           120
        .value_kind:     by_value
    .group_segment_fixed_size: 0
    .kernarg_segment_align: 8
    .kernarg_segment_size: 120
    .language:       OpenCL C
    .language_version:
      - 2
      - 0
    .max_flat_workgroup_size: 256
    .name:           _ZN7rocprim17ROCPRIM_400000_NS6detail17trampoline_kernelINS0_14default_configENS1_27scan_by_key_config_selectorImiEEZZNS1_16scan_by_key_implILNS1_25lookback_scan_determinismE0ELb0ES3_N6thrust23THRUST_200600_302600_NS18transform_iteratorI9row_indexNS9_17counting_iteratorImNS9_11use_defaultESD_SD_EESD_SD_EENS9_6detail15normal_iteratorINS9_10device_ptrIiEEEESK_iNS9_4plusIvEENS9_8equal_toIvEEiEE10hipError_tPvRmT2_T3_T4_T5_mT6_T7_P12ihipStream_tbENKUlT_T0_E_clISt17integral_constantIbLb0EES15_EEDaS10_S11_EUlS10_E_NS1_11comp_targetILNS1_3genE5ELNS1_11target_archE942ELNS1_3gpuE9ELNS1_3repE0EEENS1_30default_config_static_selectorELNS0_4arch9wavefront6targetE0EEEvT1_
    .private_segment_fixed_size: 0
    .sgpr_count:     0
    .sgpr_spill_count: 0
    .symbol:         _ZN7rocprim17ROCPRIM_400000_NS6detail17trampoline_kernelINS0_14default_configENS1_27scan_by_key_config_selectorImiEEZZNS1_16scan_by_key_implILNS1_25lookback_scan_determinismE0ELb0ES3_N6thrust23THRUST_200600_302600_NS18transform_iteratorI9row_indexNS9_17counting_iteratorImNS9_11use_defaultESD_SD_EESD_SD_EENS9_6detail15normal_iteratorINS9_10device_ptrIiEEEESK_iNS9_4plusIvEENS9_8equal_toIvEEiEE10hipError_tPvRmT2_T3_T4_T5_mT6_T7_P12ihipStream_tbENKUlT_T0_E_clISt17integral_constantIbLb0EES15_EEDaS10_S11_EUlS10_E_NS1_11comp_targetILNS1_3genE5ELNS1_11target_archE942ELNS1_3gpuE9ELNS1_3repE0EEENS1_30default_config_static_selectorELNS0_4arch9wavefront6targetE0EEEvT1_.kd
    .uniform_work_group_size: 1
    .uses_dynamic_stack: false
    .vgpr_count:     0
    .vgpr_spill_count: 0
    .wavefront_size: 32
    .workgroup_processor_mode: 1
  - .args:
      - .offset:         0
        .size:           120
        .value_kind:     by_value
    .group_segment_fixed_size: 0
    .kernarg_segment_align: 8
    .kernarg_segment_size: 120
    .language:       OpenCL C
    .language_version:
      - 2
      - 0
    .max_flat_workgroup_size: 256
    .name:           _ZN7rocprim17ROCPRIM_400000_NS6detail17trampoline_kernelINS0_14default_configENS1_27scan_by_key_config_selectorImiEEZZNS1_16scan_by_key_implILNS1_25lookback_scan_determinismE0ELb0ES3_N6thrust23THRUST_200600_302600_NS18transform_iteratorI9row_indexNS9_17counting_iteratorImNS9_11use_defaultESD_SD_EESD_SD_EENS9_6detail15normal_iteratorINS9_10device_ptrIiEEEESK_iNS9_4plusIvEENS9_8equal_toIvEEiEE10hipError_tPvRmT2_T3_T4_T5_mT6_T7_P12ihipStream_tbENKUlT_T0_E_clISt17integral_constantIbLb0EES15_EEDaS10_S11_EUlS10_E_NS1_11comp_targetILNS1_3genE4ELNS1_11target_archE910ELNS1_3gpuE8ELNS1_3repE0EEENS1_30default_config_static_selectorELNS0_4arch9wavefront6targetE0EEEvT1_
    .private_segment_fixed_size: 0
    .sgpr_count:     0
    .sgpr_spill_count: 0
    .symbol:         _ZN7rocprim17ROCPRIM_400000_NS6detail17trampoline_kernelINS0_14default_configENS1_27scan_by_key_config_selectorImiEEZZNS1_16scan_by_key_implILNS1_25lookback_scan_determinismE0ELb0ES3_N6thrust23THRUST_200600_302600_NS18transform_iteratorI9row_indexNS9_17counting_iteratorImNS9_11use_defaultESD_SD_EESD_SD_EENS9_6detail15normal_iteratorINS9_10device_ptrIiEEEESK_iNS9_4plusIvEENS9_8equal_toIvEEiEE10hipError_tPvRmT2_T3_T4_T5_mT6_T7_P12ihipStream_tbENKUlT_T0_E_clISt17integral_constantIbLb0EES15_EEDaS10_S11_EUlS10_E_NS1_11comp_targetILNS1_3genE4ELNS1_11target_archE910ELNS1_3gpuE8ELNS1_3repE0EEENS1_30default_config_static_selectorELNS0_4arch9wavefront6targetE0EEEvT1_.kd
    .uniform_work_group_size: 1
    .uses_dynamic_stack: false
    .vgpr_count:     0
    .vgpr_spill_count: 0
    .wavefront_size: 32
    .workgroup_processor_mode: 1
  - .args:
      - .offset:         0
        .size:           120
        .value_kind:     by_value
    .group_segment_fixed_size: 0
    .kernarg_segment_align: 8
    .kernarg_segment_size: 120
    .language:       OpenCL C
    .language_version:
      - 2
      - 0
    .max_flat_workgroup_size: 256
    .name:           _ZN7rocprim17ROCPRIM_400000_NS6detail17trampoline_kernelINS0_14default_configENS1_27scan_by_key_config_selectorImiEEZZNS1_16scan_by_key_implILNS1_25lookback_scan_determinismE0ELb0ES3_N6thrust23THRUST_200600_302600_NS18transform_iteratorI9row_indexNS9_17counting_iteratorImNS9_11use_defaultESD_SD_EESD_SD_EENS9_6detail15normal_iteratorINS9_10device_ptrIiEEEESK_iNS9_4plusIvEENS9_8equal_toIvEEiEE10hipError_tPvRmT2_T3_T4_T5_mT6_T7_P12ihipStream_tbENKUlT_T0_E_clISt17integral_constantIbLb0EES15_EEDaS10_S11_EUlS10_E_NS1_11comp_targetILNS1_3genE3ELNS1_11target_archE908ELNS1_3gpuE7ELNS1_3repE0EEENS1_30default_config_static_selectorELNS0_4arch9wavefront6targetE0EEEvT1_
    .private_segment_fixed_size: 0
    .sgpr_count:     0
    .sgpr_spill_count: 0
    .symbol:         _ZN7rocprim17ROCPRIM_400000_NS6detail17trampoline_kernelINS0_14default_configENS1_27scan_by_key_config_selectorImiEEZZNS1_16scan_by_key_implILNS1_25lookback_scan_determinismE0ELb0ES3_N6thrust23THRUST_200600_302600_NS18transform_iteratorI9row_indexNS9_17counting_iteratorImNS9_11use_defaultESD_SD_EESD_SD_EENS9_6detail15normal_iteratorINS9_10device_ptrIiEEEESK_iNS9_4plusIvEENS9_8equal_toIvEEiEE10hipError_tPvRmT2_T3_T4_T5_mT6_T7_P12ihipStream_tbENKUlT_T0_E_clISt17integral_constantIbLb0EES15_EEDaS10_S11_EUlS10_E_NS1_11comp_targetILNS1_3genE3ELNS1_11target_archE908ELNS1_3gpuE7ELNS1_3repE0EEENS1_30default_config_static_selectorELNS0_4arch9wavefront6targetE0EEEvT1_.kd
    .uniform_work_group_size: 1
    .uses_dynamic_stack: false
    .vgpr_count:     0
    .vgpr_spill_count: 0
    .wavefront_size: 32
    .workgroup_processor_mode: 1
  - .args:
      - .offset:         0
        .size:           120
        .value_kind:     by_value
    .group_segment_fixed_size: 0
    .kernarg_segment_align: 8
    .kernarg_segment_size: 120
    .language:       OpenCL C
    .language_version:
      - 2
      - 0
    .max_flat_workgroup_size: 256
    .name:           _ZN7rocprim17ROCPRIM_400000_NS6detail17trampoline_kernelINS0_14default_configENS1_27scan_by_key_config_selectorImiEEZZNS1_16scan_by_key_implILNS1_25lookback_scan_determinismE0ELb0ES3_N6thrust23THRUST_200600_302600_NS18transform_iteratorI9row_indexNS9_17counting_iteratorImNS9_11use_defaultESD_SD_EESD_SD_EENS9_6detail15normal_iteratorINS9_10device_ptrIiEEEESK_iNS9_4plusIvEENS9_8equal_toIvEEiEE10hipError_tPvRmT2_T3_T4_T5_mT6_T7_P12ihipStream_tbENKUlT_T0_E_clISt17integral_constantIbLb0EES15_EEDaS10_S11_EUlS10_E_NS1_11comp_targetILNS1_3genE2ELNS1_11target_archE906ELNS1_3gpuE6ELNS1_3repE0EEENS1_30default_config_static_selectorELNS0_4arch9wavefront6targetE0EEEvT1_
    .private_segment_fixed_size: 0
    .sgpr_count:     0
    .sgpr_spill_count: 0
    .symbol:         _ZN7rocprim17ROCPRIM_400000_NS6detail17trampoline_kernelINS0_14default_configENS1_27scan_by_key_config_selectorImiEEZZNS1_16scan_by_key_implILNS1_25lookback_scan_determinismE0ELb0ES3_N6thrust23THRUST_200600_302600_NS18transform_iteratorI9row_indexNS9_17counting_iteratorImNS9_11use_defaultESD_SD_EESD_SD_EENS9_6detail15normal_iteratorINS9_10device_ptrIiEEEESK_iNS9_4plusIvEENS9_8equal_toIvEEiEE10hipError_tPvRmT2_T3_T4_T5_mT6_T7_P12ihipStream_tbENKUlT_T0_E_clISt17integral_constantIbLb0EES15_EEDaS10_S11_EUlS10_E_NS1_11comp_targetILNS1_3genE2ELNS1_11target_archE906ELNS1_3gpuE6ELNS1_3repE0EEENS1_30default_config_static_selectorELNS0_4arch9wavefront6targetE0EEEvT1_.kd
    .uniform_work_group_size: 1
    .uses_dynamic_stack: false
    .vgpr_count:     0
    .vgpr_spill_count: 0
    .wavefront_size: 32
    .workgroup_processor_mode: 1
  - .args:
      - .offset:         0
        .size:           120
        .value_kind:     by_value
    .group_segment_fixed_size: 0
    .kernarg_segment_align: 8
    .kernarg_segment_size: 120
    .language:       OpenCL C
    .language_version:
      - 2
      - 0
    .max_flat_workgroup_size: 256
    .name:           _ZN7rocprim17ROCPRIM_400000_NS6detail17trampoline_kernelINS0_14default_configENS1_27scan_by_key_config_selectorImiEEZZNS1_16scan_by_key_implILNS1_25lookback_scan_determinismE0ELb0ES3_N6thrust23THRUST_200600_302600_NS18transform_iteratorI9row_indexNS9_17counting_iteratorImNS9_11use_defaultESD_SD_EESD_SD_EENS9_6detail15normal_iteratorINS9_10device_ptrIiEEEESK_iNS9_4plusIvEENS9_8equal_toIvEEiEE10hipError_tPvRmT2_T3_T4_T5_mT6_T7_P12ihipStream_tbENKUlT_T0_E_clISt17integral_constantIbLb0EES15_EEDaS10_S11_EUlS10_E_NS1_11comp_targetILNS1_3genE10ELNS1_11target_archE1200ELNS1_3gpuE4ELNS1_3repE0EEENS1_30default_config_static_selectorELNS0_4arch9wavefront6targetE0EEEvT1_
    .private_segment_fixed_size: 0
    .sgpr_count:     0
    .sgpr_spill_count: 0
    .symbol:         _ZN7rocprim17ROCPRIM_400000_NS6detail17trampoline_kernelINS0_14default_configENS1_27scan_by_key_config_selectorImiEEZZNS1_16scan_by_key_implILNS1_25lookback_scan_determinismE0ELb0ES3_N6thrust23THRUST_200600_302600_NS18transform_iteratorI9row_indexNS9_17counting_iteratorImNS9_11use_defaultESD_SD_EESD_SD_EENS9_6detail15normal_iteratorINS9_10device_ptrIiEEEESK_iNS9_4plusIvEENS9_8equal_toIvEEiEE10hipError_tPvRmT2_T3_T4_T5_mT6_T7_P12ihipStream_tbENKUlT_T0_E_clISt17integral_constantIbLb0EES15_EEDaS10_S11_EUlS10_E_NS1_11comp_targetILNS1_3genE10ELNS1_11target_archE1200ELNS1_3gpuE4ELNS1_3repE0EEENS1_30default_config_static_selectorELNS0_4arch9wavefront6targetE0EEEvT1_.kd
    .uniform_work_group_size: 1
    .uses_dynamic_stack: false
    .vgpr_count:     0
    .vgpr_spill_count: 0
    .wavefront_size: 32
    .workgroup_processor_mode: 1
  - .args:
      - .offset:         0
        .size:           120
        .value_kind:     by_value
    .group_segment_fixed_size: 0
    .kernarg_segment_align: 8
    .kernarg_segment_size: 120
    .language:       OpenCL C
    .language_version:
      - 2
      - 0
    .max_flat_workgroup_size: 256
    .name:           _ZN7rocprim17ROCPRIM_400000_NS6detail17trampoline_kernelINS0_14default_configENS1_27scan_by_key_config_selectorImiEEZZNS1_16scan_by_key_implILNS1_25lookback_scan_determinismE0ELb0ES3_N6thrust23THRUST_200600_302600_NS18transform_iteratorI9row_indexNS9_17counting_iteratorImNS9_11use_defaultESD_SD_EESD_SD_EENS9_6detail15normal_iteratorINS9_10device_ptrIiEEEESK_iNS9_4plusIvEENS9_8equal_toIvEEiEE10hipError_tPvRmT2_T3_T4_T5_mT6_T7_P12ihipStream_tbENKUlT_T0_E_clISt17integral_constantIbLb0EES15_EEDaS10_S11_EUlS10_E_NS1_11comp_targetILNS1_3genE9ELNS1_11target_archE1100ELNS1_3gpuE3ELNS1_3repE0EEENS1_30default_config_static_selectorELNS0_4arch9wavefront6targetE0EEEvT1_
    .private_segment_fixed_size: 0
    .sgpr_count:     0
    .sgpr_spill_count: 0
    .symbol:         _ZN7rocprim17ROCPRIM_400000_NS6detail17trampoline_kernelINS0_14default_configENS1_27scan_by_key_config_selectorImiEEZZNS1_16scan_by_key_implILNS1_25lookback_scan_determinismE0ELb0ES3_N6thrust23THRUST_200600_302600_NS18transform_iteratorI9row_indexNS9_17counting_iteratorImNS9_11use_defaultESD_SD_EESD_SD_EENS9_6detail15normal_iteratorINS9_10device_ptrIiEEEESK_iNS9_4plusIvEENS9_8equal_toIvEEiEE10hipError_tPvRmT2_T3_T4_T5_mT6_T7_P12ihipStream_tbENKUlT_T0_E_clISt17integral_constantIbLb0EES15_EEDaS10_S11_EUlS10_E_NS1_11comp_targetILNS1_3genE9ELNS1_11target_archE1100ELNS1_3gpuE3ELNS1_3repE0EEENS1_30default_config_static_selectorELNS0_4arch9wavefront6targetE0EEEvT1_.kd
    .uniform_work_group_size: 1
    .uses_dynamic_stack: false
    .vgpr_count:     0
    .vgpr_spill_count: 0
    .wavefront_size: 32
    .workgroup_processor_mode: 1
  - .args:
      - .offset:         0
        .size:           120
        .value_kind:     by_value
    .group_segment_fixed_size: 10240
    .kernarg_segment_align: 8
    .kernarg_segment_size: 120
    .language:       OpenCL C
    .language_version:
      - 2
      - 0
    .max_flat_workgroup_size: 256
    .name:           _ZN7rocprim17ROCPRIM_400000_NS6detail17trampoline_kernelINS0_14default_configENS1_27scan_by_key_config_selectorImiEEZZNS1_16scan_by_key_implILNS1_25lookback_scan_determinismE0ELb0ES3_N6thrust23THRUST_200600_302600_NS18transform_iteratorI9row_indexNS9_17counting_iteratorImNS9_11use_defaultESD_SD_EESD_SD_EENS9_6detail15normal_iteratorINS9_10device_ptrIiEEEESK_iNS9_4plusIvEENS9_8equal_toIvEEiEE10hipError_tPvRmT2_T3_T4_T5_mT6_T7_P12ihipStream_tbENKUlT_T0_E_clISt17integral_constantIbLb0EES15_EEDaS10_S11_EUlS10_E_NS1_11comp_targetILNS1_3genE8ELNS1_11target_archE1030ELNS1_3gpuE2ELNS1_3repE0EEENS1_30default_config_static_selectorELNS0_4arch9wavefront6targetE0EEEvT1_
    .private_segment_fixed_size: 0
    .sgpr_count:     49
    .sgpr_spill_count: 0
    .symbol:         _ZN7rocprim17ROCPRIM_400000_NS6detail17trampoline_kernelINS0_14default_configENS1_27scan_by_key_config_selectorImiEEZZNS1_16scan_by_key_implILNS1_25lookback_scan_determinismE0ELb0ES3_N6thrust23THRUST_200600_302600_NS18transform_iteratorI9row_indexNS9_17counting_iteratorImNS9_11use_defaultESD_SD_EESD_SD_EENS9_6detail15normal_iteratorINS9_10device_ptrIiEEEESK_iNS9_4plusIvEENS9_8equal_toIvEEiEE10hipError_tPvRmT2_T3_T4_T5_mT6_T7_P12ihipStream_tbENKUlT_T0_E_clISt17integral_constantIbLb0EES15_EEDaS10_S11_EUlS10_E_NS1_11comp_targetILNS1_3genE8ELNS1_11target_archE1030ELNS1_3gpuE2ELNS1_3repE0EEENS1_30default_config_static_selectorELNS0_4arch9wavefront6targetE0EEEvT1_.kd
    .uniform_work_group_size: 1
    .uses_dynamic_stack: false
    .vgpr_count:     37
    .vgpr_spill_count: 0
    .wavefront_size: 32
    .workgroup_processor_mode: 1
  - .args:
      - .address_space:  global
        .offset:         0
        .size:           8
        .value_kind:     global_buffer
      - .offset:         8
        .size:           4
        .value_kind:     by_value
      - .offset:         12
        .size:           4
        .value_kind:     by_value
      - .address_space:  global
        .offset:         16
        .size:           8
        .value_kind:     global_buffer
      - .offset:         24
        .size:           16
        .value_kind:     by_value
      - .actual_access:  write_only
        .address_space:  global
        .offset:         40
        .size:           8
        .value_kind:     global_buffer
      - .offset:         48
        .size:           8
        .value_kind:     by_value
      - .offset:         56
        .size:           4
        .value_kind:     by_value
      - .address_space:  global
        .offset:         64
        .size:           8
        .value_kind:     global_buffer
      - .offset:         72
        .size:           4
        .value_kind:     hidden_block_count_x
      - .offset:         76
        .size:           4
        .value_kind:     hidden_block_count_y
      - .offset:         80
        .size:           4
        .value_kind:     hidden_block_count_z
      - .offset:         84
        .size:           2
        .value_kind:     hidden_group_size_x
      - .offset:         86
        .size:           2
        .value_kind:     hidden_group_size_y
      - .offset:         88
        .size:           2
        .value_kind:     hidden_group_size_z
      - .offset:         90
        .size:           2
        .value_kind:     hidden_remainder_x
      - .offset:         92
        .size:           2
        .value_kind:     hidden_remainder_y
      - .offset:         94
        .size:           2
        .value_kind:     hidden_remainder_z
      - .offset:         112
        .size:           8
        .value_kind:     hidden_global_offset_x
      - .offset:         120
        .size:           8
        .value_kind:     hidden_global_offset_y
      - .offset:         128
        .size:           8
        .value_kind:     hidden_global_offset_z
      - .offset:         136
        .size:           2
        .value_kind:     hidden_grid_dims
    .group_segment_fixed_size: 0
    .kernarg_segment_align: 8
    .kernarg_segment_size: 328
    .language:       OpenCL C
    .language_version:
      - 2
      - 0
    .max_flat_workgroup_size: 256
    .name:           _ZN7rocprim17ROCPRIM_400000_NS6detail30init_device_scan_by_key_kernelINS1_19lookback_scan_stateINS0_5tupleIJibEEELb1ELb1EEEN6thrust23THRUST_200600_302600_NS18transform_iteratorI9row_indexNS8_17counting_iteratorImNS8_11use_defaultESC_SC_EESC_SC_EEjNS1_16block_id_wrapperIjLb1EEEEEvT_jjPNSH_10value_typeET0_PNSt15iterator_traitsISK_E10value_typeEmT1_T2_
    .private_segment_fixed_size: 0
    .sgpr_count:     23
    .sgpr_spill_count: 0
    .symbol:         _ZN7rocprim17ROCPRIM_400000_NS6detail30init_device_scan_by_key_kernelINS1_19lookback_scan_stateINS0_5tupleIJibEEELb1ELb1EEEN6thrust23THRUST_200600_302600_NS18transform_iteratorI9row_indexNS8_17counting_iteratorImNS8_11use_defaultESC_SC_EESC_SC_EEjNS1_16block_id_wrapperIjLb1EEEEEvT_jjPNSH_10value_typeET0_PNSt15iterator_traitsISK_E10value_typeEmT1_T2_.kd
    .uniform_work_group_size: 1
    .uses_dynamic_stack: false
    .vgpr_count:     20
    .vgpr_spill_count: 0
    .wavefront_size: 32
    .workgroup_processor_mode: 1
  - .args:
      - .address_space:  global
        .offset:         0
        .size:           8
        .value_kind:     global_buffer
      - .offset:         8
        .size:           4
        .value_kind:     by_value
      - .offset:         12
        .size:           4
        .value_kind:     by_value
      - .address_space:  global
        .offset:         16
        .size:           8
        .value_kind:     global_buffer
      - .address_space:  global
        .offset:         24
        .size:           8
        .value_kind:     global_buffer
      - .offset:         32
        .size:           4
        .value_kind:     hidden_block_count_x
      - .offset:         36
        .size:           4
        .value_kind:     hidden_block_count_y
      - .offset:         40
        .size:           4
        .value_kind:     hidden_block_count_z
      - .offset:         44
        .size:           2
        .value_kind:     hidden_group_size_x
      - .offset:         46
        .size:           2
        .value_kind:     hidden_group_size_y
      - .offset:         48
        .size:           2
        .value_kind:     hidden_group_size_z
      - .offset:         50
        .size:           2
        .value_kind:     hidden_remainder_x
      - .offset:         52
        .size:           2
        .value_kind:     hidden_remainder_y
      - .offset:         54
        .size:           2
        .value_kind:     hidden_remainder_z
      - .offset:         72
        .size:           8
        .value_kind:     hidden_global_offset_x
      - .offset:         80
        .size:           8
        .value_kind:     hidden_global_offset_y
      - .offset:         88
        .size:           8
        .value_kind:     hidden_global_offset_z
      - .offset:         96
        .size:           2
        .value_kind:     hidden_grid_dims
    .group_segment_fixed_size: 0
    .kernarg_segment_align: 8
    .kernarg_segment_size: 288
    .language:       OpenCL C
    .language_version:
      - 2
      - 0
    .max_flat_workgroup_size: 256
    .name:           _ZN7rocprim17ROCPRIM_400000_NS6detail30init_device_scan_by_key_kernelINS1_19lookback_scan_stateINS0_5tupleIJibEEELb1ELb1EEENS1_16block_id_wrapperIjLb1EEEEEvT_jjPNS9_10value_typeET0_
    .private_segment_fixed_size: 0
    .sgpr_count:     18
    .sgpr_spill_count: 0
    .symbol:         _ZN7rocprim17ROCPRIM_400000_NS6detail30init_device_scan_by_key_kernelINS1_19lookback_scan_stateINS0_5tupleIJibEEELb1ELb1EEENS1_16block_id_wrapperIjLb1EEEEEvT_jjPNS9_10value_typeET0_.kd
    .uniform_work_group_size: 1
    .uses_dynamic_stack: false
    .vgpr_count:     8
    .vgpr_spill_count: 0
    .wavefront_size: 32
    .workgroup_processor_mode: 1
  - .args:
      - .offset:         0
        .size:           120
        .value_kind:     by_value
    .group_segment_fixed_size: 0
    .kernarg_segment_align: 8
    .kernarg_segment_size: 120
    .language:       OpenCL C
    .language_version:
      - 2
      - 0
    .max_flat_workgroup_size: 256
    .name:           _ZN7rocprim17ROCPRIM_400000_NS6detail17trampoline_kernelINS0_14default_configENS1_27scan_by_key_config_selectorImiEEZZNS1_16scan_by_key_implILNS1_25lookback_scan_determinismE0ELb0ES3_N6thrust23THRUST_200600_302600_NS18transform_iteratorI9row_indexNS9_17counting_iteratorImNS9_11use_defaultESD_SD_EESD_SD_EENS9_6detail15normal_iteratorINS9_10device_ptrIiEEEESK_iNS9_4plusIvEENS9_8equal_toIvEEiEE10hipError_tPvRmT2_T3_T4_T5_mT6_T7_P12ihipStream_tbENKUlT_T0_E_clISt17integral_constantIbLb1EES15_EEDaS10_S11_EUlS10_E_NS1_11comp_targetILNS1_3genE0ELNS1_11target_archE4294967295ELNS1_3gpuE0ELNS1_3repE0EEENS1_30default_config_static_selectorELNS0_4arch9wavefront6targetE0EEEvT1_
    .private_segment_fixed_size: 0
    .sgpr_count:     0
    .sgpr_spill_count: 0
    .symbol:         _ZN7rocprim17ROCPRIM_400000_NS6detail17trampoline_kernelINS0_14default_configENS1_27scan_by_key_config_selectorImiEEZZNS1_16scan_by_key_implILNS1_25lookback_scan_determinismE0ELb0ES3_N6thrust23THRUST_200600_302600_NS18transform_iteratorI9row_indexNS9_17counting_iteratorImNS9_11use_defaultESD_SD_EESD_SD_EENS9_6detail15normal_iteratorINS9_10device_ptrIiEEEESK_iNS9_4plusIvEENS9_8equal_toIvEEiEE10hipError_tPvRmT2_T3_T4_T5_mT6_T7_P12ihipStream_tbENKUlT_T0_E_clISt17integral_constantIbLb1EES15_EEDaS10_S11_EUlS10_E_NS1_11comp_targetILNS1_3genE0ELNS1_11target_archE4294967295ELNS1_3gpuE0ELNS1_3repE0EEENS1_30default_config_static_selectorELNS0_4arch9wavefront6targetE0EEEvT1_.kd
    .uniform_work_group_size: 1
    .uses_dynamic_stack: false
    .vgpr_count:     0
    .vgpr_spill_count: 0
    .wavefront_size: 32
    .workgroup_processor_mode: 1
  - .args:
      - .offset:         0
        .size:           120
        .value_kind:     by_value
    .group_segment_fixed_size: 0
    .kernarg_segment_align: 8
    .kernarg_segment_size: 120
    .language:       OpenCL C
    .language_version:
      - 2
      - 0
    .max_flat_workgroup_size: 256
    .name:           _ZN7rocprim17ROCPRIM_400000_NS6detail17trampoline_kernelINS0_14default_configENS1_27scan_by_key_config_selectorImiEEZZNS1_16scan_by_key_implILNS1_25lookback_scan_determinismE0ELb0ES3_N6thrust23THRUST_200600_302600_NS18transform_iteratorI9row_indexNS9_17counting_iteratorImNS9_11use_defaultESD_SD_EESD_SD_EENS9_6detail15normal_iteratorINS9_10device_ptrIiEEEESK_iNS9_4plusIvEENS9_8equal_toIvEEiEE10hipError_tPvRmT2_T3_T4_T5_mT6_T7_P12ihipStream_tbENKUlT_T0_E_clISt17integral_constantIbLb1EES15_EEDaS10_S11_EUlS10_E_NS1_11comp_targetILNS1_3genE10ELNS1_11target_archE1201ELNS1_3gpuE5ELNS1_3repE0EEENS1_30default_config_static_selectorELNS0_4arch9wavefront6targetE0EEEvT1_
    .private_segment_fixed_size: 0
    .sgpr_count:     0
    .sgpr_spill_count: 0
    .symbol:         _ZN7rocprim17ROCPRIM_400000_NS6detail17trampoline_kernelINS0_14default_configENS1_27scan_by_key_config_selectorImiEEZZNS1_16scan_by_key_implILNS1_25lookback_scan_determinismE0ELb0ES3_N6thrust23THRUST_200600_302600_NS18transform_iteratorI9row_indexNS9_17counting_iteratorImNS9_11use_defaultESD_SD_EESD_SD_EENS9_6detail15normal_iteratorINS9_10device_ptrIiEEEESK_iNS9_4plusIvEENS9_8equal_toIvEEiEE10hipError_tPvRmT2_T3_T4_T5_mT6_T7_P12ihipStream_tbENKUlT_T0_E_clISt17integral_constantIbLb1EES15_EEDaS10_S11_EUlS10_E_NS1_11comp_targetILNS1_3genE10ELNS1_11target_archE1201ELNS1_3gpuE5ELNS1_3repE0EEENS1_30default_config_static_selectorELNS0_4arch9wavefront6targetE0EEEvT1_.kd
    .uniform_work_group_size: 1
    .uses_dynamic_stack: false
    .vgpr_count:     0
    .vgpr_spill_count: 0
    .wavefront_size: 32
    .workgroup_processor_mode: 1
  - .args:
      - .offset:         0
        .size:           120
        .value_kind:     by_value
    .group_segment_fixed_size: 0
    .kernarg_segment_align: 8
    .kernarg_segment_size: 120
    .language:       OpenCL C
    .language_version:
      - 2
      - 0
    .max_flat_workgroup_size: 256
    .name:           _ZN7rocprim17ROCPRIM_400000_NS6detail17trampoline_kernelINS0_14default_configENS1_27scan_by_key_config_selectorImiEEZZNS1_16scan_by_key_implILNS1_25lookback_scan_determinismE0ELb0ES3_N6thrust23THRUST_200600_302600_NS18transform_iteratorI9row_indexNS9_17counting_iteratorImNS9_11use_defaultESD_SD_EESD_SD_EENS9_6detail15normal_iteratorINS9_10device_ptrIiEEEESK_iNS9_4plusIvEENS9_8equal_toIvEEiEE10hipError_tPvRmT2_T3_T4_T5_mT6_T7_P12ihipStream_tbENKUlT_T0_E_clISt17integral_constantIbLb1EES15_EEDaS10_S11_EUlS10_E_NS1_11comp_targetILNS1_3genE5ELNS1_11target_archE942ELNS1_3gpuE9ELNS1_3repE0EEENS1_30default_config_static_selectorELNS0_4arch9wavefront6targetE0EEEvT1_
    .private_segment_fixed_size: 0
    .sgpr_count:     0
    .sgpr_spill_count: 0
    .symbol:         _ZN7rocprim17ROCPRIM_400000_NS6detail17trampoline_kernelINS0_14default_configENS1_27scan_by_key_config_selectorImiEEZZNS1_16scan_by_key_implILNS1_25lookback_scan_determinismE0ELb0ES3_N6thrust23THRUST_200600_302600_NS18transform_iteratorI9row_indexNS9_17counting_iteratorImNS9_11use_defaultESD_SD_EESD_SD_EENS9_6detail15normal_iteratorINS9_10device_ptrIiEEEESK_iNS9_4plusIvEENS9_8equal_toIvEEiEE10hipError_tPvRmT2_T3_T4_T5_mT6_T7_P12ihipStream_tbENKUlT_T0_E_clISt17integral_constantIbLb1EES15_EEDaS10_S11_EUlS10_E_NS1_11comp_targetILNS1_3genE5ELNS1_11target_archE942ELNS1_3gpuE9ELNS1_3repE0EEENS1_30default_config_static_selectorELNS0_4arch9wavefront6targetE0EEEvT1_.kd
    .uniform_work_group_size: 1
    .uses_dynamic_stack: false
    .vgpr_count:     0
    .vgpr_spill_count: 0
    .wavefront_size: 32
    .workgroup_processor_mode: 1
  - .args:
      - .offset:         0
        .size:           120
        .value_kind:     by_value
    .group_segment_fixed_size: 0
    .kernarg_segment_align: 8
    .kernarg_segment_size: 120
    .language:       OpenCL C
    .language_version:
      - 2
      - 0
    .max_flat_workgroup_size: 256
    .name:           _ZN7rocprim17ROCPRIM_400000_NS6detail17trampoline_kernelINS0_14default_configENS1_27scan_by_key_config_selectorImiEEZZNS1_16scan_by_key_implILNS1_25lookback_scan_determinismE0ELb0ES3_N6thrust23THRUST_200600_302600_NS18transform_iteratorI9row_indexNS9_17counting_iteratorImNS9_11use_defaultESD_SD_EESD_SD_EENS9_6detail15normal_iteratorINS9_10device_ptrIiEEEESK_iNS9_4plusIvEENS9_8equal_toIvEEiEE10hipError_tPvRmT2_T3_T4_T5_mT6_T7_P12ihipStream_tbENKUlT_T0_E_clISt17integral_constantIbLb1EES15_EEDaS10_S11_EUlS10_E_NS1_11comp_targetILNS1_3genE4ELNS1_11target_archE910ELNS1_3gpuE8ELNS1_3repE0EEENS1_30default_config_static_selectorELNS0_4arch9wavefront6targetE0EEEvT1_
    .private_segment_fixed_size: 0
    .sgpr_count:     0
    .sgpr_spill_count: 0
    .symbol:         _ZN7rocprim17ROCPRIM_400000_NS6detail17trampoline_kernelINS0_14default_configENS1_27scan_by_key_config_selectorImiEEZZNS1_16scan_by_key_implILNS1_25lookback_scan_determinismE0ELb0ES3_N6thrust23THRUST_200600_302600_NS18transform_iteratorI9row_indexNS9_17counting_iteratorImNS9_11use_defaultESD_SD_EESD_SD_EENS9_6detail15normal_iteratorINS9_10device_ptrIiEEEESK_iNS9_4plusIvEENS9_8equal_toIvEEiEE10hipError_tPvRmT2_T3_T4_T5_mT6_T7_P12ihipStream_tbENKUlT_T0_E_clISt17integral_constantIbLb1EES15_EEDaS10_S11_EUlS10_E_NS1_11comp_targetILNS1_3genE4ELNS1_11target_archE910ELNS1_3gpuE8ELNS1_3repE0EEENS1_30default_config_static_selectorELNS0_4arch9wavefront6targetE0EEEvT1_.kd
    .uniform_work_group_size: 1
    .uses_dynamic_stack: false
    .vgpr_count:     0
    .vgpr_spill_count: 0
    .wavefront_size: 32
    .workgroup_processor_mode: 1
  - .args:
      - .offset:         0
        .size:           120
        .value_kind:     by_value
    .group_segment_fixed_size: 0
    .kernarg_segment_align: 8
    .kernarg_segment_size: 120
    .language:       OpenCL C
    .language_version:
      - 2
      - 0
    .max_flat_workgroup_size: 256
    .name:           _ZN7rocprim17ROCPRIM_400000_NS6detail17trampoline_kernelINS0_14default_configENS1_27scan_by_key_config_selectorImiEEZZNS1_16scan_by_key_implILNS1_25lookback_scan_determinismE0ELb0ES3_N6thrust23THRUST_200600_302600_NS18transform_iteratorI9row_indexNS9_17counting_iteratorImNS9_11use_defaultESD_SD_EESD_SD_EENS9_6detail15normal_iteratorINS9_10device_ptrIiEEEESK_iNS9_4plusIvEENS9_8equal_toIvEEiEE10hipError_tPvRmT2_T3_T4_T5_mT6_T7_P12ihipStream_tbENKUlT_T0_E_clISt17integral_constantIbLb1EES15_EEDaS10_S11_EUlS10_E_NS1_11comp_targetILNS1_3genE3ELNS1_11target_archE908ELNS1_3gpuE7ELNS1_3repE0EEENS1_30default_config_static_selectorELNS0_4arch9wavefront6targetE0EEEvT1_
    .private_segment_fixed_size: 0
    .sgpr_count:     0
    .sgpr_spill_count: 0
    .symbol:         _ZN7rocprim17ROCPRIM_400000_NS6detail17trampoline_kernelINS0_14default_configENS1_27scan_by_key_config_selectorImiEEZZNS1_16scan_by_key_implILNS1_25lookback_scan_determinismE0ELb0ES3_N6thrust23THRUST_200600_302600_NS18transform_iteratorI9row_indexNS9_17counting_iteratorImNS9_11use_defaultESD_SD_EESD_SD_EENS9_6detail15normal_iteratorINS9_10device_ptrIiEEEESK_iNS9_4plusIvEENS9_8equal_toIvEEiEE10hipError_tPvRmT2_T3_T4_T5_mT6_T7_P12ihipStream_tbENKUlT_T0_E_clISt17integral_constantIbLb1EES15_EEDaS10_S11_EUlS10_E_NS1_11comp_targetILNS1_3genE3ELNS1_11target_archE908ELNS1_3gpuE7ELNS1_3repE0EEENS1_30default_config_static_selectorELNS0_4arch9wavefront6targetE0EEEvT1_.kd
    .uniform_work_group_size: 1
    .uses_dynamic_stack: false
    .vgpr_count:     0
    .vgpr_spill_count: 0
    .wavefront_size: 32
    .workgroup_processor_mode: 1
  - .args:
      - .offset:         0
        .size:           120
        .value_kind:     by_value
    .group_segment_fixed_size: 0
    .kernarg_segment_align: 8
    .kernarg_segment_size: 120
    .language:       OpenCL C
    .language_version:
      - 2
      - 0
    .max_flat_workgroup_size: 256
    .name:           _ZN7rocprim17ROCPRIM_400000_NS6detail17trampoline_kernelINS0_14default_configENS1_27scan_by_key_config_selectorImiEEZZNS1_16scan_by_key_implILNS1_25lookback_scan_determinismE0ELb0ES3_N6thrust23THRUST_200600_302600_NS18transform_iteratorI9row_indexNS9_17counting_iteratorImNS9_11use_defaultESD_SD_EESD_SD_EENS9_6detail15normal_iteratorINS9_10device_ptrIiEEEESK_iNS9_4plusIvEENS9_8equal_toIvEEiEE10hipError_tPvRmT2_T3_T4_T5_mT6_T7_P12ihipStream_tbENKUlT_T0_E_clISt17integral_constantIbLb1EES15_EEDaS10_S11_EUlS10_E_NS1_11comp_targetILNS1_3genE2ELNS1_11target_archE906ELNS1_3gpuE6ELNS1_3repE0EEENS1_30default_config_static_selectorELNS0_4arch9wavefront6targetE0EEEvT1_
    .private_segment_fixed_size: 0
    .sgpr_count:     0
    .sgpr_spill_count: 0
    .symbol:         _ZN7rocprim17ROCPRIM_400000_NS6detail17trampoline_kernelINS0_14default_configENS1_27scan_by_key_config_selectorImiEEZZNS1_16scan_by_key_implILNS1_25lookback_scan_determinismE0ELb0ES3_N6thrust23THRUST_200600_302600_NS18transform_iteratorI9row_indexNS9_17counting_iteratorImNS9_11use_defaultESD_SD_EESD_SD_EENS9_6detail15normal_iteratorINS9_10device_ptrIiEEEESK_iNS9_4plusIvEENS9_8equal_toIvEEiEE10hipError_tPvRmT2_T3_T4_T5_mT6_T7_P12ihipStream_tbENKUlT_T0_E_clISt17integral_constantIbLb1EES15_EEDaS10_S11_EUlS10_E_NS1_11comp_targetILNS1_3genE2ELNS1_11target_archE906ELNS1_3gpuE6ELNS1_3repE0EEENS1_30default_config_static_selectorELNS0_4arch9wavefront6targetE0EEEvT1_.kd
    .uniform_work_group_size: 1
    .uses_dynamic_stack: false
    .vgpr_count:     0
    .vgpr_spill_count: 0
    .wavefront_size: 32
    .workgroup_processor_mode: 1
  - .args:
      - .offset:         0
        .size:           120
        .value_kind:     by_value
    .group_segment_fixed_size: 0
    .kernarg_segment_align: 8
    .kernarg_segment_size: 120
    .language:       OpenCL C
    .language_version:
      - 2
      - 0
    .max_flat_workgroup_size: 256
    .name:           _ZN7rocprim17ROCPRIM_400000_NS6detail17trampoline_kernelINS0_14default_configENS1_27scan_by_key_config_selectorImiEEZZNS1_16scan_by_key_implILNS1_25lookback_scan_determinismE0ELb0ES3_N6thrust23THRUST_200600_302600_NS18transform_iteratorI9row_indexNS9_17counting_iteratorImNS9_11use_defaultESD_SD_EESD_SD_EENS9_6detail15normal_iteratorINS9_10device_ptrIiEEEESK_iNS9_4plusIvEENS9_8equal_toIvEEiEE10hipError_tPvRmT2_T3_T4_T5_mT6_T7_P12ihipStream_tbENKUlT_T0_E_clISt17integral_constantIbLb1EES15_EEDaS10_S11_EUlS10_E_NS1_11comp_targetILNS1_3genE10ELNS1_11target_archE1200ELNS1_3gpuE4ELNS1_3repE0EEENS1_30default_config_static_selectorELNS0_4arch9wavefront6targetE0EEEvT1_
    .private_segment_fixed_size: 0
    .sgpr_count:     0
    .sgpr_spill_count: 0
    .symbol:         _ZN7rocprim17ROCPRIM_400000_NS6detail17trampoline_kernelINS0_14default_configENS1_27scan_by_key_config_selectorImiEEZZNS1_16scan_by_key_implILNS1_25lookback_scan_determinismE0ELb0ES3_N6thrust23THRUST_200600_302600_NS18transform_iteratorI9row_indexNS9_17counting_iteratorImNS9_11use_defaultESD_SD_EESD_SD_EENS9_6detail15normal_iteratorINS9_10device_ptrIiEEEESK_iNS9_4plusIvEENS9_8equal_toIvEEiEE10hipError_tPvRmT2_T3_T4_T5_mT6_T7_P12ihipStream_tbENKUlT_T0_E_clISt17integral_constantIbLb1EES15_EEDaS10_S11_EUlS10_E_NS1_11comp_targetILNS1_3genE10ELNS1_11target_archE1200ELNS1_3gpuE4ELNS1_3repE0EEENS1_30default_config_static_selectorELNS0_4arch9wavefront6targetE0EEEvT1_.kd
    .uniform_work_group_size: 1
    .uses_dynamic_stack: false
    .vgpr_count:     0
    .vgpr_spill_count: 0
    .wavefront_size: 32
    .workgroup_processor_mode: 1
  - .args:
      - .offset:         0
        .size:           120
        .value_kind:     by_value
    .group_segment_fixed_size: 0
    .kernarg_segment_align: 8
    .kernarg_segment_size: 120
    .language:       OpenCL C
    .language_version:
      - 2
      - 0
    .max_flat_workgroup_size: 256
    .name:           _ZN7rocprim17ROCPRIM_400000_NS6detail17trampoline_kernelINS0_14default_configENS1_27scan_by_key_config_selectorImiEEZZNS1_16scan_by_key_implILNS1_25lookback_scan_determinismE0ELb0ES3_N6thrust23THRUST_200600_302600_NS18transform_iteratorI9row_indexNS9_17counting_iteratorImNS9_11use_defaultESD_SD_EESD_SD_EENS9_6detail15normal_iteratorINS9_10device_ptrIiEEEESK_iNS9_4plusIvEENS9_8equal_toIvEEiEE10hipError_tPvRmT2_T3_T4_T5_mT6_T7_P12ihipStream_tbENKUlT_T0_E_clISt17integral_constantIbLb1EES15_EEDaS10_S11_EUlS10_E_NS1_11comp_targetILNS1_3genE9ELNS1_11target_archE1100ELNS1_3gpuE3ELNS1_3repE0EEENS1_30default_config_static_selectorELNS0_4arch9wavefront6targetE0EEEvT1_
    .private_segment_fixed_size: 0
    .sgpr_count:     0
    .sgpr_spill_count: 0
    .symbol:         _ZN7rocprim17ROCPRIM_400000_NS6detail17trampoline_kernelINS0_14default_configENS1_27scan_by_key_config_selectorImiEEZZNS1_16scan_by_key_implILNS1_25lookback_scan_determinismE0ELb0ES3_N6thrust23THRUST_200600_302600_NS18transform_iteratorI9row_indexNS9_17counting_iteratorImNS9_11use_defaultESD_SD_EESD_SD_EENS9_6detail15normal_iteratorINS9_10device_ptrIiEEEESK_iNS9_4plusIvEENS9_8equal_toIvEEiEE10hipError_tPvRmT2_T3_T4_T5_mT6_T7_P12ihipStream_tbENKUlT_T0_E_clISt17integral_constantIbLb1EES15_EEDaS10_S11_EUlS10_E_NS1_11comp_targetILNS1_3genE9ELNS1_11target_archE1100ELNS1_3gpuE3ELNS1_3repE0EEENS1_30default_config_static_selectorELNS0_4arch9wavefront6targetE0EEEvT1_.kd
    .uniform_work_group_size: 1
    .uses_dynamic_stack: false
    .vgpr_count:     0
    .vgpr_spill_count: 0
    .wavefront_size: 32
    .workgroup_processor_mode: 1
  - .args:
      - .offset:         0
        .size:           120
        .value_kind:     by_value
    .group_segment_fixed_size: 0
    .kernarg_segment_align: 8
    .kernarg_segment_size: 120
    .language:       OpenCL C
    .language_version:
      - 2
      - 0
    .max_flat_workgroup_size: 256
    .name:           _ZN7rocprim17ROCPRIM_400000_NS6detail17trampoline_kernelINS0_14default_configENS1_27scan_by_key_config_selectorImiEEZZNS1_16scan_by_key_implILNS1_25lookback_scan_determinismE0ELb0ES3_N6thrust23THRUST_200600_302600_NS18transform_iteratorI9row_indexNS9_17counting_iteratorImNS9_11use_defaultESD_SD_EESD_SD_EENS9_6detail15normal_iteratorINS9_10device_ptrIiEEEESK_iNS9_4plusIvEENS9_8equal_toIvEEiEE10hipError_tPvRmT2_T3_T4_T5_mT6_T7_P12ihipStream_tbENKUlT_T0_E_clISt17integral_constantIbLb1EES15_EEDaS10_S11_EUlS10_E_NS1_11comp_targetILNS1_3genE8ELNS1_11target_archE1030ELNS1_3gpuE2ELNS1_3repE0EEENS1_30default_config_static_selectorELNS0_4arch9wavefront6targetE0EEEvT1_
    .private_segment_fixed_size: 0
    .sgpr_count:     0
    .sgpr_spill_count: 0
    .symbol:         _ZN7rocprim17ROCPRIM_400000_NS6detail17trampoline_kernelINS0_14default_configENS1_27scan_by_key_config_selectorImiEEZZNS1_16scan_by_key_implILNS1_25lookback_scan_determinismE0ELb0ES3_N6thrust23THRUST_200600_302600_NS18transform_iteratorI9row_indexNS9_17counting_iteratorImNS9_11use_defaultESD_SD_EESD_SD_EENS9_6detail15normal_iteratorINS9_10device_ptrIiEEEESK_iNS9_4plusIvEENS9_8equal_toIvEEiEE10hipError_tPvRmT2_T3_T4_T5_mT6_T7_P12ihipStream_tbENKUlT_T0_E_clISt17integral_constantIbLb1EES15_EEDaS10_S11_EUlS10_E_NS1_11comp_targetILNS1_3genE8ELNS1_11target_archE1030ELNS1_3gpuE2ELNS1_3repE0EEENS1_30default_config_static_selectorELNS0_4arch9wavefront6targetE0EEEvT1_.kd
    .uniform_work_group_size: 1
    .uses_dynamic_stack: false
    .vgpr_count:     0
    .vgpr_spill_count: 0
    .wavefront_size: 32
    .workgroup_processor_mode: 1
  - .args:
      - .address_space:  global
        .offset:         0
        .size:           8
        .value_kind:     global_buffer
      - .offset:         8
        .size:           4
        .value_kind:     by_value
      - .offset:         12
        .size:           4
        .value_kind:     by_value
      - .address_space:  global
        .offset:         16
        .size:           8
        .value_kind:     global_buffer
      - .offset:         24
        .size:           16
        .value_kind:     by_value
      - .actual_access:  write_only
        .address_space:  global
        .offset:         40
        .size:           8
        .value_kind:     global_buffer
      - .offset:         48
        .size:           8
        .value_kind:     by_value
      - .offset:         56
        .size:           4
        .value_kind:     by_value
      - .offset:         60
        .size:           1
        .value_kind:     by_value
      - .offset:         64
        .size:           4
        .value_kind:     hidden_block_count_x
      - .offset:         68
        .size:           4
        .value_kind:     hidden_block_count_y
      - .offset:         72
        .size:           4
        .value_kind:     hidden_block_count_z
      - .offset:         76
        .size:           2
        .value_kind:     hidden_group_size_x
      - .offset:         78
        .size:           2
        .value_kind:     hidden_group_size_y
      - .offset:         80
        .size:           2
        .value_kind:     hidden_group_size_z
      - .offset:         82
        .size:           2
        .value_kind:     hidden_remainder_x
      - .offset:         84
        .size:           2
        .value_kind:     hidden_remainder_y
      - .offset:         86
        .size:           2
        .value_kind:     hidden_remainder_z
      - .offset:         104
        .size:           8
        .value_kind:     hidden_global_offset_x
      - .offset:         112
        .size:           8
        .value_kind:     hidden_global_offset_y
      - .offset:         120
        .size:           8
        .value_kind:     hidden_global_offset_z
      - .offset:         128
        .size:           2
        .value_kind:     hidden_grid_dims
    .group_segment_fixed_size: 0
    .kernarg_segment_align: 8
    .kernarg_segment_size: 320
    .language:       OpenCL C
    .language_version:
      - 2
      - 0
    .max_flat_workgroup_size: 256
    .name:           _ZN7rocprim17ROCPRIM_400000_NS6detail30init_device_scan_by_key_kernelINS1_19lookback_scan_stateINS0_5tupleIJibEEELb1ELb1EEEN6thrust23THRUST_200600_302600_NS18transform_iteratorI9row_indexNS8_17counting_iteratorImNS8_11use_defaultESC_SC_EESC_SC_EEjNS1_16block_id_wrapperIjLb0EEEEEvT_jjPNSH_10value_typeET0_PNSt15iterator_traitsISK_E10value_typeEmT1_T2_
    .private_segment_fixed_size: 0
    .sgpr_count:     23
    .sgpr_spill_count: 0
    .symbol:         _ZN7rocprim17ROCPRIM_400000_NS6detail30init_device_scan_by_key_kernelINS1_19lookback_scan_stateINS0_5tupleIJibEEELb1ELb1EEEN6thrust23THRUST_200600_302600_NS18transform_iteratorI9row_indexNS8_17counting_iteratorImNS8_11use_defaultESC_SC_EESC_SC_EEjNS1_16block_id_wrapperIjLb0EEEEEvT_jjPNSH_10value_typeET0_PNSt15iterator_traitsISK_E10value_typeEmT1_T2_.kd
    .uniform_work_group_size: 1
    .uses_dynamic_stack: false
    .vgpr_count:     20
    .vgpr_spill_count: 0
    .wavefront_size: 32
    .workgroup_processor_mode: 1
  - .args:
      - .address_space:  global
        .offset:         0
        .size:           8
        .value_kind:     global_buffer
      - .offset:         8
        .size:           4
        .value_kind:     by_value
      - .offset:         12
        .size:           4
        .value_kind:     by_value
      - .address_space:  global
        .offset:         16
        .size:           8
        .value_kind:     global_buffer
      - .offset:         24
        .size:           1
        .value_kind:     by_value
      - .offset:         32
        .size:           4
        .value_kind:     hidden_block_count_x
      - .offset:         36
        .size:           4
        .value_kind:     hidden_block_count_y
      - .offset:         40
        .size:           4
        .value_kind:     hidden_block_count_z
      - .offset:         44
        .size:           2
        .value_kind:     hidden_group_size_x
      - .offset:         46
        .size:           2
        .value_kind:     hidden_group_size_y
      - .offset:         48
        .size:           2
        .value_kind:     hidden_group_size_z
      - .offset:         50
        .size:           2
        .value_kind:     hidden_remainder_x
      - .offset:         52
        .size:           2
        .value_kind:     hidden_remainder_y
      - .offset:         54
        .size:           2
        .value_kind:     hidden_remainder_z
      - .offset:         72
        .size:           8
        .value_kind:     hidden_global_offset_x
      - .offset:         80
        .size:           8
        .value_kind:     hidden_global_offset_y
      - .offset:         88
        .size:           8
        .value_kind:     hidden_global_offset_z
      - .offset:         96
        .size:           2
        .value_kind:     hidden_grid_dims
    .group_segment_fixed_size: 0
    .kernarg_segment_align: 8
    .kernarg_segment_size: 288
    .language:       OpenCL C
    .language_version:
      - 2
      - 0
    .max_flat_workgroup_size: 256
    .name:           _ZN7rocprim17ROCPRIM_400000_NS6detail30init_device_scan_by_key_kernelINS1_19lookback_scan_stateINS0_5tupleIJibEEELb1ELb1EEENS1_16block_id_wrapperIjLb0EEEEEvT_jjPNS9_10value_typeET0_
    .private_segment_fixed_size: 0
    .sgpr_count:     12
    .sgpr_spill_count: 0
    .symbol:         _ZN7rocprim17ROCPRIM_400000_NS6detail30init_device_scan_by_key_kernelINS1_19lookback_scan_stateINS0_5tupleIJibEEELb1ELb1EEENS1_16block_id_wrapperIjLb0EEEEEvT_jjPNS9_10value_typeET0_.kd
    .uniform_work_group_size: 1
    .uses_dynamic_stack: false
    .vgpr_count:     8
    .vgpr_spill_count: 0
    .wavefront_size: 32
    .workgroup_processor_mode: 1
  - .args:
      - .offset:         0
        .size:           120
        .value_kind:     by_value
    .group_segment_fixed_size: 0
    .kernarg_segment_align: 8
    .kernarg_segment_size: 120
    .language:       OpenCL C
    .language_version:
      - 2
      - 0
    .max_flat_workgroup_size: 256
    .name:           _ZN7rocprim17ROCPRIM_400000_NS6detail17trampoline_kernelINS0_14default_configENS1_27scan_by_key_config_selectorImiEEZZNS1_16scan_by_key_implILNS1_25lookback_scan_determinismE0ELb0ES3_N6thrust23THRUST_200600_302600_NS18transform_iteratorI9row_indexNS9_17counting_iteratorImNS9_11use_defaultESD_SD_EESD_SD_EENS9_6detail15normal_iteratorINS9_10device_ptrIiEEEESK_iNS9_4plusIvEENS9_8equal_toIvEEiEE10hipError_tPvRmT2_T3_T4_T5_mT6_T7_P12ihipStream_tbENKUlT_T0_E_clISt17integral_constantIbLb1EES14_IbLb0EEEEDaS10_S11_EUlS10_E_NS1_11comp_targetILNS1_3genE0ELNS1_11target_archE4294967295ELNS1_3gpuE0ELNS1_3repE0EEENS1_30default_config_static_selectorELNS0_4arch9wavefront6targetE0EEEvT1_
    .private_segment_fixed_size: 0
    .sgpr_count:     0
    .sgpr_spill_count: 0
    .symbol:         _ZN7rocprim17ROCPRIM_400000_NS6detail17trampoline_kernelINS0_14default_configENS1_27scan_by_key_config_selectorImiEEZZNS1_16scan_by_key_implILNS1_25lookback_scan_determinismE0ELb0ES3_N6thrust23THRUST_200600_302600_NS18transform_iteratorI9row_indexNS9_17counting_iteratorImNS9_11use_defaultESD_SD_EESD_SD_EENS9_6detail15normal_iteratorINS9_10device_ptrIiEEEESK_iNS9_4plusIvEENS9_8equal_toIvEEiEE10hipError_tPvRmT2_T3_T4_T5_mT6_T7_P12ihipStream_tbENKUlT_T0_E_clISt17integral_constantIbLb1EES14_IbLb0EEEEDaS10_S11_EUlS10_E_NS1_11comp_targetILNS1_3genE0ELNS1_11target_archE4294967295ELNS1_3gpuE0ELNS1_3repE0EEENS1_30default_config_static_selectorELNS0_4arch9wavefront6targetE0EEEvT1_.kd
    .uniform_work_group_size: 1
    .uses_dynamic_stack: false
    .vgpr_count:     0
    .vgpr_spill_count: 0
    .wavefront_size: 32
    .workgroup_processor_mode: 1
  - .args:
      - .offset:         0
        .size:           120
        .value_kind:     by_value
    .group_segment_fixed_size: 0
    .kernarg_segment_align: 8
    .kernarg_segment_size: 120
    .language:       OpenCL C
    .language_version:
      - 2
      - 0
    .max_flat_workgroup_size: 256
    .name:           _ZN7rocprim17ROCPRIM_400000_NS6detail17trampoline_kernelINS0_14default_configENS1_27scan_by_key_config_selectorImiEEZZNS1_16scan_by_key_implILNS1_25lookback_scan_determinismE0ELb0ES3_N6thrust23THRUST_200600_302600_NS18transform_iteratorI9row_indexNS9_17counting_iteratorImNS9_11use_defaultESD_SD_EESD_SD_EENS9_6detail15normal_iteratorINS9_10device_ptrIiEEEESK_iNS9_4plusIvEENS9_8equal_toIvEEiEE10hipError_tPvRmT2_T3_T4_T5_mT6_T7_P12ihipStream_tbENKUlT_T0_E_clISt17integral_constantIbLb1EES14_IbLb0EEEEDaS10_S11_EUlS10_E_NS1_11comp_targetILNS1_3genE10ELNS1_11target_archE1201ELNS1_3gpuE5ELNS1_3repE0EEENS1_30default_config_static_selectorELNS0_4arch9wavefront6targetE0EEEvT1_
    .private_segment_fixed_size: 0
    .sgpr_count:     0
    .sgpr_spill_count: 0
    .symbol:         _ZN7rocprim17ROCPRIM_400000_NS6detail17trampoline_kernelINS0_14default_configENS1_27scan_by_key_config_selectorImiEEZZNS1_16scan_by_key_implILNS1_25lookback_scan_determinismE0ELb0ES3_N6thrust23THRUST_200600_302600_NS18transform_iteratorI9row_indexNS9_17counting_iteratorImNS9_11use_defaultESD_SD_EESD_SD_EENS9_6detail15normal_iteratorINS9_10device_ptrIiEEEESK_iNS9_4plusIvEENS9_8equal_toIvEEiEE10hipError_tPvRmT2_T3_T4_T5_mT6_T7_P12ihipStream_tbENKUlT_T0_E_clISt17integral_constantIbLb1EES14_IbLb0EEEEDaS10_S11_EUlS10_E_NS1_11comp_targetILNS1_3genE10ELNS1_11target_archE1201ELNS1_3gpuE5ELNS1_3repE0EEENS1_30default_config_static_selectorELNS0_4arch9wavefront6targetE0EEEvT1_.kd
    .uniform_work_group_size: 1
    .uses_dynamic_stack: false
    .vgpr_count:     0
    .vgpr_spill_count: 0
    .wavefront_size: 32
    .workgroup_processor_mode: 1
  - .args:
      - .offset:         0
        .size:           120
        .value_kind:     by_value
    .group_segment_fixed_size: 0
    .kernarg_segment_align: 8
    .kernarg_segment_size: 120
    .language:       OpenCL C
    .language_version:
      - 2
      - 0
    .max_flat_workgroup_size: 256
    .name:           _ZN7rocprim17ROCPRIM_400000_NS6detail17trampoline_kernelINS0_14default_configENS1_27scan_by_key_config_selectorImiEEZZNS1_16scan_by_key_implILNS1_25lookback_scan_determinismE0ELb0ES3_N6thrust23THRUST_200600_302600_NS18transform_iteratorI9row_indexNS9_17counting_iteratorImNS9_11use_defaultESD_SD_EESD_SD_EENS9_6detail15normal_iteratorINS9_10device_ptrIiEEEESK_iNS9_4plusIvEENS9_8equal_toIvEEiEE10hipError_tPvRmT2_T3_T4_T5_mT6_T7_P12ihipStream_tbENKUlT_T0_E_clISt17integral_constantIbLb1EES14_IbLb0EEEEDaS10_S11_EUlS10_E_NS1_11comp_targetILNS1_3genE5ELNS1_11target_archE942ELNS1_3gpuE9ELNS1_3repE0EEENS1_30default_config_static_selectorELNS0_4arch9wavefront6targetE0EEEvT1_
    .private_segment_fixed_size: 0
    .sgpr_count:     0
    .sgpr_spill_count: 0
    .symbol:         _ZN7rocprim17ROCPRIM_400000_NS6detail17trampoline_kernelINS0_14default_configENS1_27scan_by_key_config_selectorImiEEZZNS1_16scan_by_key_implILNS1_25lookback_scan_determinismE0ELb0ES3_N6thrust23THRUST_200600_302600_NS18transform_iteratorI9row_indexNS9_17counting_iteratorImNS9_11use_defaultESD_SD_EESD_SD_EENS9_6detail15normal_iteratorINS9_10device_ptrIiEEEESK_iNS9_4plusIvEENS9_8equal_toIvEEiEE10hipError_tPvRmT2_T3_T4_T5_mT6_T7_P12ihipStream_tbENKUlT_T0_E_clISt17integral_constantIbLb1EES14_IbLb0EEEEDaS10_S11_EUlS10_E_NS1_11comp_targetILNS1_3genE5ELNS1_11target_archE942ELNS1_3gpuE9ELNS1_3repE0EEENS1_30default_config_static_selectorELNS0_4arch9wavefront6targetE0EEEvT1_.kd
    .uniform_work_group_size: 1
    .uses_dynamic_stack: false
    .vgpr_count:     0
    .vgpr_spill_count: 0
    .wavefront_size: 32
    .workgroup_processor_mode: 1
  - .args:
      - .offset:         0
        .size:           120
        .value_kind:     by_value
    .group_segment_fixed_size: 0
    .kernarg_segment_align: 8
    .kernarg_segment_size: 120
    .language:       OpenCL C
    .language_version:
      - 2
      - 0
    .max_flat_workgroup_size: 256
    .name:           _ZN7rocprim17ROCPRIM_400000_NS6detail17trampoline_kernelINS0_14default_configENS1_27scan_by_key_config_selectorImiEEZZNS1_16scan_by_key_implILNS1_25lookback_scan_determinismE0ELb0ES3_N6thrust23THRUST_200600_302600_NS18transform_iteratorI9row_indexNS9_17counting_iteratorImNS9_11use_defaultESD_SD_EESD_SD_EENS9_6detail15normal_iteratorINS9_10device_ptrIiEEEESK_iNS9_4plusIvEENS9_8equal_toIvEEiEE10hipError_tPvRmT2_T3_T4_T5_mT6_T7_P12ihipStream_tbENKUlT_T0_E_clISt17integral_constantIbLb1EES14_IbLb0EEEEDaS10_S11_EUlS10_E_NS1_11comp_targetILNS1_3genE4ELNS1_11target_archE910ELNS1_3gpuE8ELNS1_3repE0EEENS1_30default_config_static_selectorELNS0_4arch9wavefront6targetE0EEEvT1_
    .private_segment_fixed_size: 0
    .sgpr_count:     0
    .sgpr_spill_count: 0
    .symbol:         _ZN7rocprim17ROCPRIM_400000_NS6detail17trampoline_kernelINS0_14default_configENS1_27scan_by_key_config_selectorImiEEZZNS1_16scan_by_key_implILNS1_25lookback_scan_determinismE0ELb0ES3_N6thrust23THRUST_200600_302600_NS18transform_iteratorI9row_indexNS9_17counting_iteratorImNS9_11use_defaultESD_SD_EESD_SD_EENS9_6detail15normal_iteratorINS9_10device_ptrIiEEEESK_iNS9_4plusIvEENS9_8equal_toIvEEiEE10hipError_tPvRmT2_T3_T4_T5_mT6_T7_P12ihipStream_tbENKUlT_T0_E_clISt17integral_constantIbLb1EES14_IbLb0EEEEDaS10_S11_EUlS10_E_NS1_11comp_targetILNS1_3genE4ELNS1_11target_archE910ELNS1_3gpuE8ELNS1_3repE0EEENS1_30default_config_static_selectorELNS0_4arch9wavefront6targetE0EEEvT1_.kd
    .uniform_work_group_size: 1
    .uses_dynamic_stack: false
    .vgpr_count:     0
    .vgpr_spill_count: 0
    .wavefront_size: 32
    .workgroup_processor_mode: 1
  - .args:
      - .offset:         0
        .size:           120
        .value_kind:     by_value
    .group_segment_fixed_size: 0
    .kernarg_segment_align: 8
    .kernarg_segment_size: 120
    .language:       OpenCL C
    .language_version:
      - 2
      - 0
    .max_flat_workgroup_size: 256
    .name:           _ZN7rocprim17ROCPRIM_400000_NS6detail17trampoline_kernelINS0_14default_configENS1_27scan_by_key_config_selectorImiEEZZNS1_16scan_by_key_implILNS1_25lookback_scan_determinismE0ELb0ES3_N6thrust23THRUST_200600_302600_NS18transform_iteratorI9row_indexNS9_17counting_iteratorImNS9_11use_defaultESD_SD_EESD_SD_EENS9_6detail15normal_iteratorINS9_10device_ptrIiEEEESK_iNS9_4plusIvEENS9_8equal_toIvEEiEE10hipError_tPvRmT2_T3_T4_T5_mT6_T7_P12ihipStream_tbENKUlT_T0_E_clISt17integral_constantIbLb1EES14_IbLb0EEEEDaS10_S11_EUlS10_E_NS1_11comp_targetILNS1_3genE3ELNS1_11target_archE908ELNS1_3gpuE7ELNS1_3repE0EEENS1_30default_config_static_selectorELNS0_4arch9wavefront6targetE0EEEvT1_
    .private_segment_fixed_size: 0
    .sgpr_count:     0
    .sgpr_spill_count: 0
    .symbol:         _ZN7rocprim17ROCPRIM_400000_NS6detail17trampoline_kernelINS0_14default_configENS1_27scan_by_key_config_selectorImiEEZZNS1_16scan_by_key_implILNS1_25lookback_scan_determinismE0ELb0ES3_N6thrust23THRUST_200600_302600_NS18transform_iteratorI9row_indexNS9_17counting_iteratorImNS9_11use_defaultESD_SD_EESD_SD_EENS9_6detail15normal_iteratorINS9_10device_ptrIiEEEESK_iNS9_4plusIvEENS9_8equal_toIvEEiEE10hipError_tPvRmT2_T3_T4_T5_mT6_T7_P12ihipStream_tbENKUlT_T0_E_clISt17integral_constantIbLb1EES14_IbLb0EEEEDaS10_S11_EUlS10_E_NS1_11comp_targetILNS1_3genE3ELNS1_11target_archE908ELNS1_3gpuE7ELNS1_3repE0EEENS1_30default_config_static_selectorELNS0_4arch9wavefront6targetE0EEEvT1_.kd
    .uniform_work_group_size: 1
    .uses_dynamic_stack: false
    .vgpr_count:     0
    .vgpr_spill_count: 0
    .wavefront_size: 32
    .workgroup_processor_mode: 1
  - .args:
      - .offset:         0
        .size:           120
        .value_kind:     by_value
    .group_segment_fixed_size: 0
    .kernarg_segment_align: 8
    .kernarg_segment_size: 120
    .language:       OpenCL C
    .language_version:
      - 2
      - 0
    .max_flat_workgroup_size: 256
    .name:           _ZN7rocprim17ROCPRIM_400000_NS6detail17trampoline_kernelINS0_14default_configENS1_27scan_by_key_config_selectorImiEEZZNS1_16scan_by_key_implILNS1_25lookback_scan_determinismE0ELb0ES3_N6thrust23THRUST_200600_302600_NS18transform_iteratorI9row_indexNS9_17counting_iteratorImNS9_11use_defaultESD_SD_EESD_SD_EENS9_6detail15normal_iteratorINS9_10device_ptrIiEEEESK_iNS9_4plusIvEENS9_8equal_toIvEEiEE10hipError_tPvRmT2_T3_T4_T5_mT6_T7_P12ihipStream_tbENKUlT_T0_E_clISt17integral_constantIbLb1EES14_IbLb0EEEEDaS10_S11_EUlS10_E_NS1_11comp_targetILNS1_3genE2ELNS1_11target_archE906ELNS1_3gpuE6ELNS1_3repE0EEENS1_30default_config_static_selectorELNS0_4arch9wavefront6targetE0EEEvT1_
    .private_segment_fixed_size: 0
    .sgpr_count:     0
    .sgpr_spill_count: 0
    .symbol:         _ZN7rocprim17ROCPRIM_400000_NS6detail17trampoline_kernelINS0_14default_configENS1_27scan_by_key_config_selectorImiEEZZNS1_16scan_by_key_implILNS1_25lookback_scan_determinismE0ELb0ES3_N6thrust23THRUST_200600_302600_NS18transform_iteratorI9row_indexNS9_17counting_iteratorImNS9_11use_defaultESD_SD_EESD_SD_EENS9_6detail15normal_iteratorINS9_10device_ptrIiEEEESK_iNS9_4plusIvEENS9_8equal_toIvEEiEE10hipError_tPvRmT2_T3_T4_T5_mT6_T7_P12ihipStream_tbENKUlT_T0_E_clISt17integral_constantIbLb1EES14_IbLb0EEEEDaS10_S11_EUlS10_E_NS1_11comp_targetILNS1_3genE2ELNS1_11target_archE906ELNS1_3gpuE6ELNS1_3repE0EEENS1_30default_config_static_selectorELNS0_4arch9wavefront6targetE0EEEvT1_.kd
    .uniform_work_group_size: 1
    .uses_dynamic_stack: false
    .vgpr_count:     0
    .vgpr_spill_count: 0
    .wavefront_size: 32
    .workgroup_processor_mode: 1
  - .args:
      - .offset:         0
        .size:           120
        .value_kind:     by_value
    .group_segment_fixed_size: 0
    .kernarg_segment_align: 8
    .kernarg_segment_size: 120
    .language:       OpenCL C
    .language_version:
      - 2
      - 0
    .max_flat_workgroup_size: 256
    .name:           _ZN7rocprim17ROCPRIM_400000_NS6detail17trampoline_kernelINS0_14default_configENS1_27scan_by_key_config_selectorImiEEZZNS1_16scan_by_key_implILNS1_25lookback_scan_determinismE0ELb0ES3_N6thrust23THRUST_200600_302600_NS18transform_iteratorI9row_indexNS9_17counting_iteratorImNS9_11use_defaultESD_SD_EESD_SD_EENS9_6detail15normal_iteratorINS9_10device_ptrIiEEEESK_iNS9_4plusIvEENS9_8equal_toIvEEiEE10hipError_tPvRmT2_T3_T4_T5_mT6_T7_P12ihipStream_tbENKUlT_T0_E_clISt17integral_constantIbLb1EES14_IbLb0EEEEDaS10_S11_EUlS10_E_NS1_11comp_targetILNS1_3genE10ELNS1_11target_archE1200ELNS1_3gpuE4ELNS1_3repE0EEENS1_30default_config_static_selectorELNS0_4arch9wavefront6targetE0EEEvT1_
    .private_segment_fixed_size: 0
    .sgpr_count:     0
    .sgpr_spill_count: 0
    .symbol:         _ZN7rocprim17ROCPRIM_400000_NS6detail17trampoline_kernelINS0_14default_configENS1_27scan_by_key_config_selectorImiEEZZNS1_16scan_by_key_implILNS1_25lookback_scan_determinismE0ELb0ES3_N6thrust23THRUST_200600_302600_NS18transform_iteratorI9row_indexNS9_17counting_iteratorImNS9_11use_defaultESD_SD_EESD_SD_EENS9_6detail15normal_iteratorINS9_10device_ptrIiEEEESK_iNS9_4plusIvEENS9_8equal_toIvEEiEE10hipError_tPvRmT2_T3_T4_T5_mT6_T7_P12ihipStream_tbENKUlT_T0_E_clISt17integral_constantIbLb1EES14_IbLb0EEEEDaS10_S11_EUlS10_E_NS1_11comp_targetILNS1_3genE10ELNS1_11target_archE1200ELNS1_3gpuE4ELNS1_3repE0EEENS1_30default_config_static_selectorELNS0_4arch9wavefront6targetE0EEEvT1_.kd
    .uniform_work_group_size: 1
    .uses_dynamic_stack: false
    .vgpr_count:     0
    .vgpr_spill_count: 0
    .wavefront_size: 32
    .workgroup_processor_mode: 1
  - .args:
      - .offset:         0
        .size:           120
        .value_kind:     by_value
    .group_segment_fixed_size: 0
    .kernarg_segment_align: 8
    .kernarg_segment_size: 120
    .language:       OpenCL C
    .language_version:
      - 2
      - 0
    .max_flat_workgroup_size: 256
    .name:           _ZN7rocprim17ROCPRIM_400000_NS6detail17trampoline_kernelINS0_14default_configENS1_27scan_by_key_config_selectorImiEEZZNS1_16scan_by_key_implILNS1_25lookback_scan_determinismE0ELb0ES3_N6thrust23THRUST_200600_302600_NS18transform_iteratorI9row_indexNS9_17counting_iteratorImNS9_11use_defaultESD_SD_EESD_SD_EENS9_6detail15normal_iteratorINS9_10device_ptrIiEEEESK_iNS9_4plusIvEENS9_8equal_toIvEEiEE10hipError_tPvRmT2_T3_T4_T5_mT6_T7_P12ihipStream_tbENKUlT_T0_E_clISt17integral_constantIbLb1EES14_IbLb0EEEEDaS10_S11_EUlS10_E_NS1_11comp_targetILNS1_3genE9ELNS1_11target_archE1100ELNS1_3gpuE3ELNS1_3repE0EEENS1_30default_config_static_selectorELNS0_4arch9wavefront6targetE0EEEvT1_
    .private_segment_fixed_size: 0
    .sgpr_count:     0
    .sgpr_spill_count: 0
    .symbol:         _ZN7rocprim17ROCPRIM_400000_NS6detail17trampoline_kernelINS0_14default_configENS1_27scan_by_key_config_selectorImiEEZZNS1_16scan_by_key_implILNS1_25lookback_scan_determinismE0ELb0ES3_N6thrust23THRUST_200600_302600_NS18transform_iteratorI9row_indexNS9_17counting_iteratorImNS9_11use_defaultESD_SD_EESD_SD_EENS9_6detail15normal_iteratorINS9_10device_ptrIiEEEESK_iNS9_4plusIvEENS9_8equal_toIvEEiEE10hipError_tPvRmT2_T3_T4_T5_mT6_T7_P12ihipStream_tbENKUlT_T0_E_clISt17integral_constantIbLb1EES14_IbLb0EEEEDaS10_S11_EUlS10_E_NS1_11comp_targetILNS1_3genE9ELNS1_11target_archE1100ELNS1_3gpuE3ELNS1_3repE0EEENS1_30default_config_static_selectorELNS0_4arch9wavefront6targetE0EEEvT1_.kd
    .uniform_work_group_size: 1
    .uses_dynamic_stack: false
    .vgpr_count:     0
    .vgpr_spill_count: 0
    .wavefront_size: 32
    .workgroup_processor_mode: 1
  - .args:
      - .offset:         0
        .size:           120
        .value_kind:     by_value
    .group_segment_fixed_size: 0
    .kernarg_segment_align: 8
    .kernarg_segment_size: 120
    .language:       OpenCL C
    .language_version:
      - 2
      - 0
    .max_flat_workgroup_size: 256
    .name:           _ZN7rocprim17ROCPRIM_400000_NS6detail17trampoline_kernelINS0_14default_configENS1_27scan_by_key_config_selectorImiEEZZNS1_16scan_by_key_implILNS1_25lookback_scan_determinismE0ELb0ES3_N6thrust23THRUST_200600_302600_NS18transform_iteratorI9row_indexNS9_17counting_iteratorImNS9_11use_defaultESD_SD_EESD_SD_EENS9_6detail15normal_iteratorINS9_10device_ptrIiEEEESK_iNS9_4plusIvEENS9_8equal_toIvEEiEE10hipError_tPvRmT2_T3_T4_T5_mT6_T7_P12ihipStream_tbENKUlT_T0_E_clISt17integral_constantIbLb1EES14_IbLb0EEEEDaS10_S11_EUlS10_E_NS1_11comp_targetILNS1_3genE8ELNS1_11target_archE1030ELNS1_3gpuE2ELNS1_3repE0EEENS1_30default_config_static_selectorELNS0_4arch9wavefront6targetE0EEEvT1_
    .private_segment_fixed_size: 0
    .sgpr_count:     0
    .sgpr_spill_count: 0
    .symbol:         _ZN7rocprim17ROCPRIM_400000_NS6detail17trampoline_kernelINS0_14default_configENS1_27scan_by_key_config_selectorImiEEZZNS1_16scan_by_key_implILNS1_25lookback_scan_determinismE0ELb0ES3_N6thrust23THRUST_200600_302600_NS18transform_iteratorI9row_indexNS9_17counting_iteratorImNS9_11use_defaultESD_SD_EESD_SD_EENS9_6detail15normal_iteratorINS9_10device_ptrIiEEEESK_iNS9_4plusIvEENS9_8equal_toIvEEiEE10hipError_tPvRmT2_T3_T4_T5_mT6_T7_P12ihipStream_tbENKUlT_T0_E_clISt17integral_constantIbLb1EES14_IbLb0EEEEDaS10_S11_EUlS10_E_NS1_11comp_targetILNS1_3genE8ELNS1_11target_archE1030ELNS1_3gpuE2ELNS1_3repE0EEENS1_30default_config_static_selectorELNS0_4arch9wavefront6targetE0EEEvT1_.kd
    .uniform_work_group_size: 1
    .uses_dynamic_stack: false
    .vgpr_count:     0
    .vgpr_spill_count: 0
    .wavefront_size: 32
    .workgroup_processor_mode: 1
  - .args:
      - .address_space:  global
        .offset:         0
        .size:           8
        .value_kind:     global_buffer
      - .offset:         8
        .size:           4
        .value_kind:     by_value
      - .offset:         12
        .size:           4
        .value_kind:     by_value
      - .address_space:  global
        .offset:         16
        .size:           8
        .value_kind:     global_buffer
      - .offset:         24
        .size:           16
        .value_kind:     by_value
      - .actual_access:  write_only
        .address_space:  global
        .offset:         40
        .size:           8
        .value_kind:     global_buffer
      - .offset:         48
        .size:           8
        .value_kind:     by_value
      - .offset:         56
        .size:           4
        .value_kind:     by_value
      - .address_space:  global
        .offset:         64
        .size:           8
        .value_kind:     global_buffer
      - .offset:         72
        .size:           4
        .value_kind:     hidden_block_count_x
      - .offset:         76
        .size:           4
        .value_kind:     hidden_block_count_y
      - .offset:         80
        .size:           4
        .value_kind:     hidden_block_count_z
      - .offset:         84
        .size:           2
        .value_kind:     hidden_group_size_x
      - .offset:         86
        .size:           2
        .value_kind:     hidden_group_size_y
      - .offset:         88
        .size:           2
        .value_kind:     hidden_group_size_z
      - .offset:         90
        .size:           2
        .value_kind:     hidden_remainder_x
      - .offset:         92
        .size:           2
        .value_kind:     hidden_remainder_y
      - .offset:         94
        .size:           2
        .value_kind:     hidden_remainder_z
      - .offset:         112
        .size:           8
        .value_kind:     hidden_global_offset_x
      - .offset:         120
        .size:           8
        .value_kind:     hidden_global_offset_y
      - .offset:         128
        .size:           8
        .value_kind:     hidden_global_offset_z
      - .offset:         136
        .size:           2
        .value_kind:     hidden_grid_dims
    .group_segment_fixed_size: 0
    .kernarg_segment_align: 8
    .kernarg_segment_size: 328
    .language:       OpenCL C
    .language_version:
      - 2
      - 0
    .max_flat_workgroup_size: 256
    .name:           _ZN7rocprim17ROCPRIM_400000_NS6detail30init_device_scan_by_key_kernelINS1_19lookback_scan_stateINS0_5tupleIJibEEELb0ELb1EEEN6thrust23THRUST_200600_302600_NS18transform_iteratorI9row_indexNS8_17counting_iteratorImNS8_11use_defaultESC_SC_EESC_SC_EEjNS1_16block_id_wrapperIjLb1EEEEEvT_jjPNSH_10value_typeET0_PNSt15iterator_traitsISK_E10value_typeEmT1_T2_
    .private_segment_fixed_size: 0
    .sgpr_count:     23
    .sgpr_spill_count: 0
    .symbol:         _ZN7rocprim17ROCPRIM_400000_NS6detail30init_device_scan_by_key_kernelINS1_19lookback_scan_stateINS0_5tupleIJibEEELb0ELb1EEEN6thrust23THRUST_200600_302600_NS18transform_iteratorI9row_indexNS8_17counting_iteratorImNS8_11use_defaultESC_SC_EESC_SC_EEjNS1_16block_id_wrapperIjLb1EEEEEvT_jjPNSH_10value_typeET0_PNSt15iterator_traitsISK_E10value_typeEmT1_T2_.kd
    .uniform_work_group_size: 1
    .uses_dynamic_stack: false
    .vgpr_count:     20
    .vgpr_spill_count: 0
    .wavefront_size: 32
    .workgroup_processor_mode: 1
  - .args:
      - .address_space:  global
        .offset:         0
        .size:           8
        .value_kind:     global_buffer
      - .offset:         8
        .size:           4
        .value_kind:     by_value
      - .offset:         12
        .size:           4
        .value_kind:     by_value
      - .address_space:  global
        .offset:         16
        .size:           8
        .value_kind:     global_buffer
      - .address_space:  global
        .offset:         24
        .size:           8
        .value_kind:     global_buffer
      - .offset:         32
        .size:           4
        .value_kind:     hidden_block_count_x
      - .offset:         36
        .size:           4
        .value_kind:     hidden_block_count_y
      - .offset:         40
        .size:           4
        .value_kind:     hidden_block_count_z
      - .offset:         44
        .size:           2
        .value_kind:     hidden_group_size_x
      - .offset:         46
        .size:           2
        .value_kind:     hidden_group_size_y
      - .offset:         48
        .size:           2
        .value_kind:     hidden_group_size_z
      - .offset:         50
        .size:           2
        .value_kind:     hidden_remainder_x
      - .offset:         52
        .size:           2
        .value_kind:     hidden_remainder_y
      - .offset:         54
        .size:           2
        .value_kind:     hidden_remainder_z
      - .offset:         72
        .size:           8
        .value_kind:     hidden_global_offset_x
      - .offset:         80
        .size:           8
        .value_kind:     hidden_global_offset_y
      - .offset:         88
        .size:           8
        .value_kind:     hidden_global_offset_z
      - .offset:         96
        .size:           2
        .value_kind:     hidden_grid_dims
    .group_segment_fixed_size: 0
    .kernarg_segment_align: 8
    .kernarg_segment_size: 288
    .language:       OpenCL C
    .language_version:
      - 2
      - 0
    .max_flat_workgroup_size: 256
    .name:           _ZN7rocprim17ROCPRIM_400000_NS6detail30init_device_scan_by_key_kernelINS1_19lookback_scan_stateINS0_5tupleIJibEEELb0ELb1EEENS1_16block_id_wrapperIjLb1EEEEEvT_jjPNS9_10value_typeET0_
    .private_segment_fixed_size: 0
    .sgpr_count:     18
    .sgpr_spill_count: 0
    .symbol:         _ZN7rocprim17ROCPRIM_400000_NS6detail30init_device_scan_by_key_kernelINS1_19lookback_scan_stateINS0_5tupleIJibEEELb0ELb1EEENS1_16block_id_wrapperIjLb1EEEEEvT_jjPNS9_10value_typeET0_.kd
    .uniform_work_group_size: 1
    .uses_dynamic_stack: false
    .vgpr_count:     8
    .vgpr_spill_count: 0
    .wavefront_size: 32
    .workgroup_processor_mode: 1
  - .args:
      - .offset:         0
        .size:           120
        .value_kind:     by_value
    .group_segment_fixed_size: 0
    .kernarg_segment_align: 8
    .kernarg_segment_size: 120
    .language:       OpenCL C
    .language_version:
      - 2
      - 0
    .max_flat_workgroup_size: 256
    .name:           _ZN7rocprim17ROCPRIM_400000_NS6detail17trampoline_kernelINS0_14default_configENS1_27scan_by_key_config_selectorImiEEZZNS1_16scan_by_key_implILNS1_25lookback_scan_determinismE0ELb0ES3_N6thrust23THRUST_200600_302600_NS18transform_iteratorI9row_indexNS9_17counting_iteratorImNS9_11use_defaultESD_SD_EESD_SD_EENS9_6detail15normal_iteratorINS9_10device_ptrIiEEEESK_iNS9_4plusIvEENS9_8equal_toIvEEiEE10hipError_tPvRmT2_T3_T4_T5_mT6_T7_P12ihipStream_tbENKUlT_T0_E_clISt17integral_constantIbLb0EES14_IbLb1EEEEDaS10_S11_EUlS10_E_NS1_11comp_targetILNS1_3genE0ELNS1_11target_archE4294967295ELNS1_3gpuE0ELNS1_3repE0EEENS1_30default_config_static_selectorELNS0_4arch9wavefront6targetE0EEEvT1_
    .private_segment_fixed_size: 0
    .sgpr_count:     0
    .sgpr_spill_count: 0
    .symbol:         _ZN7rocprim17ROCPRIM_400000_NS6detail17trampoline_kernelINS0_14default_configENS1_27scan_by_key_config_selectorImiEEZZNS1_16scan_by_key_implILNS1_25lookback_scan_determinismE0ELb0ES3_N6thrust23THRUST_200600_302600_NS18transform_iteratorI9row_indexNS9_17counting_iteratorImNS9_11use_defaultESD_SD_EESD_SD_EENS9_6detail15normal_iteratorINS9_10device_ptrIiEEEESK_iNS9_4plusIvEENS9_8equal_toIvEEiEE10hipError_tPvRmT2_T3_T4_T5_mT6_T7_P12ihipStream_tbENKUlT_T0_E_clISt17integral_constantIbLb0EES14_IbLb1EEEEDaS10_S11_EUlS10_E_NS1_11comp_targetILNS1_3genE0ELNS1_11target_archE4294967295ELNS1_3gpuE0ELNS1_3repE0EEENS1_30default_config_static_selectorELNS0_4arch9wavefront6targetE0EEEvT1_.kd
    .uniform_work_group_size: 1
    .uses_dynamic_stack: false
    .vgpr_count:     0
    .vgpr_spill_count: 0
    .wavefront_size: 32
    .workgroup_processor_mode: 1
  - .args:
      - .offset:         0
        .size:           120
        .value_kind:     by_value
    .group_segment_fixed_size: 0
    .kernarg_segment_align: 8
    .kernarg_segment_size: 120
    .language:       OpenCL C
    .language_version:
      - 2
      - 0
    .max_flat_workgroup_size: 256
    .name:           _ZN7rocprim17ROCPRIM_400000_NS6detail17trampoline_kernelINS0_14default_configENS1_27scan_by_key_config_selectorImiEEZZNS1_16scan_by_key_implILNS1_25lookback_scan_determinismE0ELb0ES3_N6thrust23THRUST_200600_302600_NS18transform_iteratorI9row_indexNS9_17counting_iteratorImNS9_11use_defaultESD_SD_EESD_SD_EENS9_6detail15normal_iteratorINS9_10device_ptrIiEEEESK_iNS9_4plusIvEENS9_8equal_toIvEEiEE10hipError_tPvRmT2_T3_T4_T5_mT6_T7_P12ihipStream_tbENKUlT_T0_E_clISt17integral_constantIbLb0EES14_IbLb1EEEEDaS10_S11_EUlS10_E_NS1_11comp_targetILNS1_3genE10ELNS1_11target_archE1201ELNS1_3gpuE5ELNS1_3repE0EEENS1_30default_config_static_selectorELNS0_4arch9wavefront6targetE0EEEvT1_
    .private_segment_fixed_size: 0
    .sgpr_count:     0
    .sgpr_spill_count: 0
    .symbol:         _ZN7rocprim17ROCPRIM_400000_NS6detail17trampoline_kernelINS0_14default_configENS1_27scan_by_key_config_selectorImiEEZZNS1_16scan_by_key_implILNS1_25lookback_scan_determinismE0ELb0ES3_N6thrust23THRUST_200600_302600_NS18transform_iteratorI9row_indexNS9_17counting_iteratorImNS9_11use_defaultESD_SD_EESD_SD_EENS9_6detail15normal_iteratorINS9_10device_ptrIiEEEESK_iNS9_4plusIvEENS9_8equal_toIvEEiEE10hipError_tPvRmT2_T3_T4_T5_mT6_T7_P12ihipStream_tbENKUlT_T0_E_clISt17integral_constantIbLb0EES14_IbLb1EEEEDaS10_S11_EUlS10_E_NS1_11comp_targetILNS1_3genE10ELNS1_11target_archE1201ELNS1_3gpuE5ELNS1_3repE0EEENS1_30default_config_static_selectorELNS0_4arch9wavefront6targetE0EEEvT1_.kd
    .uniform_work_group_size: 1
    .uses_dynamic_stack: false
    .vgpr_count:     0
    .vgpr_spill_count: 0
    .wavefront_size: 32
    .workgroup_processor_mode: 1
  - .args:
      - .offset:         0
        .size:           120
        .value_kind:     by_value
    .group_segment_fixed_size: 0
    .kernarg_segment_align: 8
    .kernarg_segment_size: 120
    .language:       OpenCL C
    .language_version:
      - 2
      - 0
    .max_flat_workgroup_size: 256
    .name:           _ZN7rocprim17ROCPRIM_400000_NS6detail17trampoline_kernelINS0_14default_configENS1_27scan_by_key_config_selectorImiEEZZNS1_16scan_by_key_implILNS1_25lookback_scan_determinismE0ELb0ES3_N6thrust23THRUST_200600_302600_NS18transform_iteratorI9row_indexNS9_17counting_iteratorImNS9_11use_defaultESD_SD_EESD_SD_EENS9_6detail15normal_iteratorINS9_10device_ptrIiEEEESK_iNS9_4plusIvEENS9_8equal_toIvEEiEE10hipError_tPvRmT2_T3_T4_T5_mT6_T7_P12ihipStream_tbENKUlT_T0_E_clISt17integral_constantIbLb0EES14_IbLb1EEEEDaS10_S11_EUlS10_E_NS1_11comp_targetILNS1_3genE5ELNS1_11target_archE942ELNS1_3gpuE9ELNS1_3repE0EEENS1_30default_config_static_selectorELNS0_4arch9wavefront6targetE0EEEvT1_
    .private_segment_fixed_size: 0
    .sgpr_count:     0
    .sgpr_spill_count: 0
    .symbol:         _ZN7rocprim17ROCPRIM_400000_NS6detail17trampoline_kernelINS0_14default_configENS1_27scan_by_key_config_selectorImiEEZZNS1_16scan_by_key_implILNS1_25lookback_scan_determinismE0ELb0ES3_N6thrust23THRUST_200600_302600_NS18transform_iteratorI9row_indexNS9_17counting_iteratorImNS9_11use_defaultESD_SD_EESD_SD_EENS9_6detail15normal_iteratorINS9_10device_ptrIiEEEESK_iNS9_4plusIvEENS9_8equal_toIvEEiEE10hipError_tPvRmT2_T3_T4_T5_mT6_T7_P12ihipStream_tbENKUlT_T0_E_clISt17integral_constantIbLb0EES14_IbLb1EEEEDaS10_S11_EUlS10_E_NS1_11comp_targetILNS1_3genE5ELNS1_11target_archE942ELNS1_3gpuE9ELNS1_3repE0EEENS1_30default_config_static_selectorELNS0_4arch9wavefront6targetE0EEEvT1_.kd
    .uniform_work_group_size: 1
    .uses_dynamic_stack: false
    .vgpr_count:     0
    .vgpr_spill_count: 0
    .wavefront_size: 32
    .workgroup_processor_mode: 1
  - .args:
      - .offset:         0
        .size:           120
        .value_kind:     by_value
    .group_segment_fixed_size: 0
    .kernarg_segment_align: 8
    .kernarg_segment_size: 120
    .language:       OpenCL C
    .language_version:
      - 2
      - 0
    .max_flat_workgroup_size: 256
    .name:           _ZN7rocprim17ROCPRIM_400000_NS6detail17trampoline_kernelINS0_14default_configENS1_27scan_by_key_config_selectorImiEEZZNS1_16scan_by_key_implILNS1_25lookback_scan_determinismE0ELb0ES3_N6thrust23THRUST_200600_302600_NS18transform_iteratorI9row_indexNS9_17counting_iteratorImNS9_11use_defaultESD_SD_EESD_SD_EENS9_6detail15normal_iteratorINS9_10device_ptrIiEEEESK_iNS9_4plusIvEENS9_8equal_toIvEEiEE10hipError_tPvRmT2_T3_T4_T5_mT6_T7_P12ihipStream_tbENKUlT_T0_E_clISt17integral_constantIbLb0EES14_IbLb1EEEEDaS10_S11_EUlS10_E_NS1_11comp_targetILNS1_3genE4ELNS1_11target_archE910ELNS1_3gpuE8ELNS1_3repE0EEENS1_30default_config_static_selectorELNS0_4arch9wavefront6targetE0EEEvT1_
    .private_segment_fixed_size: 0
    .sgpr_count:     0
    .sgpr_spill_count: 0
    .symbol:         _ZN7rocprim17ROCPRIM_400000_NS6detail17trampoline_kernelINS0_14default_configENS1_27scan_by_key_config_selectorImiEEZZNS1_16scan_by_key_implILNS1_25lookback_scan_determinismE0ELb0ES3_N6thrust23THRUST_200600_302600_NS18transform_iteratorI9row_indexNS9_17counting_iteratorImNS9_11use_defaultESD_SD_EESD_SD_EENS9_6detail15normal_iteratorINS9_10device_ptrIiEEEESK_iNS9_4plusIvEENS9_8equal_toIvEEiEE10hipError_tPvRmT2_T3_T4_T5_mT6_T7_P12ihipStream_tbENKUlT_T0_E_clISt17integral_constantIbLb0EES14_IbLb1EEEEDaS10_S11_EUlS10_E_NS1_11comp_targetILNS1_3genE4ELNS1_11target_archE910ELNS1_3gpuE8ELNS1_3repE0EEENS1_30default_config_static_selectorELNS0_4arch9wavefront6targetE0EEEvT1_.kd
    .uniform_work_group_size: 1
    .uses_dynamic_stack: false
    .vgpr_count:     0
    .vgpr_spill_count: 0
    .wavefront_size: 32
    .workgroup_processor_mode: 1
  - .args:
      - .offset:         0
        .size:           120
        .value_kind:     by_value
    .group_segment_fixed_size: 0
    .kernarg_segment_align: 8
    .kernarg_segment_size: 120
    .language:       OpenCL C
    .language_version:
      - 2
      - 0
    .max_flat_workgroup_size: 256
    .name:           _ZN7rocprim17ROCPRIM_400000_NS6detail17trampoline_kernelINS0_14default_configENS1_27scan_by_key_config_selectorImiEEZZNS1_16scan_by_key_implILNS1_25lookback_scan_determinismE0ELb0ES3_N6thrust23THRUST_200600_302600_NS18transform_iteratorI9row_indexNS9_17counting_iteratorImNS9_11use_defaultESD_SD_EESD_SD_EENS9_6detail15normal_iteratorINS9_10device_ptrIiEEEESK_iNS9_4plusIvEENS9_8equal_toIvEEiEE10hipError_tPvRmT2_T3_T4_T5_mT6_T7_P12ihipStream_tbENKUlT_T0_E_clISt17integral_constantIbLb0EES14_IbLb1EEEEDaS10_S11_EUlS10_E_NS1_11comp_targetILNS1_3genE3ELNS1_11target_archE908ELNS1_3gpuE7ELNS1_3repE0EEENS1_30default_config_static_selectorELNS0_4arch9wavefront6targetE0EEEvT1_
    .private_segment_fixed_size: 0
    .sgpr_count:     0
    .sgpr_spill_count: 0
    .symbol:         _ZN7rocprim17ROCPRIM_400000_NS6detail17trampoline_kernelINS0_14default_configENS1_27scan_by_key_config_selectorImiEEZZNS1_16scan_by_key_implILNS1_25lookback_scan_determinismE0ELb0ES3_N6thrust23THRUST_200600_302600_NS18transform_iteratorI9row_indexNS9_17counting_iteratorImNS9_11use_defaultESD_SD_EESD_SD_EENS9_6detail15normal_iteratorINS9_10device_ptrIiEEEESK_iNS9_4plusIvEENS9_8equal_toIvEEiEE10hipError_tPvRmT2_T3_T4_T5_mT6_T7_P12ihipStream_tbENKUlT_T0_E_clISt17integral_constantIbLb0EES14_IbLb1EEEEDaS10_S11_EUlS10_E_NS1_11comp_targetILNS1_3genE3ELNS1_11target_archE908ELNS1_3gpuE7ELNS1_3repE0EEENS1_30default_config_static_selectorELNS0_4arch9wavefront6targetE0EEEvT1_.kd
    .uniform_work_group_size: 1
    .uses_dynamic_stack: false
    .vgpr_count:     0
    .vgpr_spill_count: 0
    .wavefront_size: 32
    .workgroup_processor_mode: 1
  - .args:
      - .offset:         0
        .size:           120
        .value_kind:     by_value
    .group_segment_fixed_size: 0
    .kernarg_segment_align: 8
    .kernarg_segment_size: 120
    .language:       OpenCL C
    .language_version:
      - 2
      - 0
    .max_flat_workgroup_size: 256
    .name:           _ZN7rocprim17ROCPRIM_400000_NS6detail17trampoline_kernelINS0_14default_configENS1_27scan_by_key_config_selectorImiEEZZNS1_16scan_by_key_implILNS1_25lookback_scan_determinismE0ELb0ES3_N6thrust23THRUST_200600_302600_NS18transform_iteratorI9row_indexNS9_17counting_iteratorImNS9_11use_defaultESD_SD_EESD_SD_EENS9_6detail15normal_iteratorINS9_10device_ptrIiEEEESK_iNS9_4plusIvEENS9_8equal_toIvEEiEE10hipError_tPvRmT2_T3_T4_T5_mT6_T7_P12ihipStream_tbENKUlT_T0_E_clISt17integral_constantIbLb0EES14_IbLb1EEEEDaS10_S11_EUlS10_E_NS1_11comp_targetILNS1_3genE2ELNS1_11target_archE906ELNS1_3gpuE6ELNS1_3repE0EEENS1_30default_config_static_selectorELNS0_4arch9wavefront6targetE0EEEvT1_
    .private_segment_fixed_size: 0
    .sgpr_count:     0
    .sgpr_spill_count: 0
    .symbol:         _ZN7rocprim17ROCPRIM_400000_NS6detail17trampoline_kernelINS0_14default_configENS1_27scan_by_key_config_selectorImiEEZZNS1_16scan_by_key_implILNS1_25lookback_scan_determinismE0ELb0ES3_N6thrust23THRUST_200600_302600_NS18transform_iteratorI9row_indexNS9_17counting_iteratorImNS9_11use_defaultESD_SD_EESD_SD_EENS9_6detail15normal_iteratorINS9_10device_ptrIiEEEESK_iNS9_4plusIvEENS9_8equal_toIvEEiEE10hipError_tPvRmT2_T3_T4_T5_mT6_T7_P12ihipStream_tbENKUlT_T0_E_clISt17integral_constantIbLb0EES14_IbLb1EEEEDaS10_S11_EUlS10_E_NS1_11comp_targetILNS1_3genE2ELNS1_11target_archE906ELNS1_3gpuE6ELNS1_3repE0EEENS1_30default_config_static_selectorELNS0_4arch9wavefront6targetE0EEEvT1_.kd
    .uniform_work_group_size: 1
    .uses_dynamic_stack: false
    .vgpr_count:     0
    .vgpr_spill_count: 0
    .wavefront_size: 32
    .workgroup_processor_mode: 1
  - .args:
      - .offset:         0
        .size:           120
        .value_kind:     by_value
    .group_segment_fixed_size: 0
    .kernarg_segment_align: 8
    .kernarg_segment_size: 120
    .language:       OpenCL C
    .language_version:
      - 2
      - 0
    .max_flat_workgroup_size: 256
    .name:           _ZN7rocprim17ROCPRIM_400000_NS6detail17trampoline_kernelINS0_14default_configENS1_27scan_by_key_config_selectorImiEEZZNS1_16scan_by_key_implILNS1_25lookback_scan_determinismE0ELb0ES3_N6thrust23THRUST_200600_302600_NS18transform_iteratorI9row_indexNS9_17counting_iteratorImNS9_11use_defaultESD_SD_EESD_SD_EENS9_6detail15normal_iteratorINS9_10device_ptrIiEEEESK_iNS9_4plusIvEENS9_8equal_toIvEEiEE10hipError_tPvRmT2_T3_T4_T5_mT6_T7_P12ihipStream_tbENKUlT_T0_E_clISt17integral_constantIbLb0EES14_IbLb1EEEEDaS10_S11_EUlS10_E_NS1_11comp_targetILNS1_3genE10ELNS1_11target_archE1200ELNS1_3gpuE4ELNS1_3repE0EEENS1_30default_config_static_selectorELNS0_4arch9wavefront6targetE0EEEvT1_
    .private_segment_fixed_size: 0
    .sgpr_count:     0
    .sgpr_spill_count: 0
    .symbol:         _ZN7rocprim17ROCPRIM_400000_NS6detail17trampoline_kernelINS0_14default_configENS1_27scan_by_key_config_selectorImiEEZZNS1_16scan_by_key_implILNS1_25lookback_scan_determinismE0ELb0ES3_N6thrust23THRUST_200600_302600_NS18transform_iteratorI9row_indexNS9_17counting_iteratorImNS9_11use_defaultESD_SD_EESD_SD_EENS9_6detail15normal_iteratorINS9_10device_ptrIiEEEESK_iNS9_4plusIvEENS9_8equal_toIvEEiEE10hipError_tPvRmT2_T3_T4_T5_mT6_T7_P12ihipStream_tbENKUlT_T0_E_clISt17integral_constantIbLb0EES14_IbLb1EEEEDaS10_S11_EUlS10_E_NS1_11comp_targetILNS1_3genE10ELNS1_11target_archE1200ELNS1_3gpuE4ELNS1_3repE0EEENS1_30default_config_static_selectorELNS0_4arch9wavefront6targetE0EEEvT1_.kd
    .uniform_work_group_size: 1
    .uses_dynamic_stack: false
    .vgpr_count:     0
    .vgpr_spill_count: 0
    .wavefront_size: 32
    .workgroup_processor_mode: 1
  - .args:
      - .offset:         0
        .size:           120
        .value_kind:     by_value
    .group_segment_fixed_size: 0
    .kernarg_segment_align: 8
    .kernarg_segment_size: 120
    .language:       OpenCL C
    .language_version:
      - 2
      - 0
    .max_flat_workgroup_size: 256
    .name:           _ZN7rocprim17ROCPRIM_400000_NS6detail17trampoline_kernelINS0_14default_configENS1_27scan_by_key_config_selectorImiEEZZNS1_16scan_by_key_implILNS1_25lookback_scan_determinismE0ELb0ES3_N6thrust23THRUST_200600_302600_NS18transform_iteratorI9row_indexNS9_17counting_iteratorImNS9_11use_defaultESD_SD_EESD_SD_EENS9_6detail15normal_iteratorINS9_10device_ptrIiEEEESK_iNS9_4plusIvEENS9_8equal_toIvEEiEE10hipError_tPvRmT2_T3_T4_T5_mT6_T7_P12ihipStream_tbENKUlT_T0_E_clISt17integral_constantIbLb0EES14_IbLb1EEEEDaS10_S11_EUlS10_E_NS1_11comp_targetILNS1_3genE9ELNS1_11target_archE1100ELNS1_3gpuE3ELNS1_3repE0EEENS1_30default_config_static_selectorELNS0_4arch9wavefront6targetE0EEEvT1_
    .private_segment_fixed_size: 0
    .sgpr_count:     0
    .sgpr_spill_count: 0
    .symbol:         _ZN7rocprim17ROCPRIM_400000_NS6detail17trampoline_kernelINS0_14default_configENS1_27scan_by_key_config_selectorImiEEZZNS1_16scan_by_key_implILNS1_25lookback_scan_determinismE0ELb0ES3_N6thrust23THRUST_200600_302600_NS18transform_iteratorI9row_indexNS9_17counting_iteratorImNS9_11use_defaultESD_SD_EESD_SD_EENS9_6detail15normal_iteratorINS9_10device_ptrIiEEEESK_iNS9_4plusIvEENS9_8equal_toIvEEiEE10hipError_tPvRmT2_T3_T4_T5_mT6_T7_P12ihipStream_tbENKUlT_T0_E_clISt17integral_constantIbLb0EES14_IbLb1EEEEDaS10_S11_EUlS10_E_NS1_11comp_targetILNS1_3genE9ELNS1_11target_archE1100ELNS1_3gpuE3ELNS1_3repE0EEENS1_30default_config_static_selectorELNS0_4arch9wavefront6targetE0EEEvT1_.kd
    .uniform_work_group_size: 1
    .uses_dynamic_stack: false
    .vgpr_count:     0
    .vgpr_spill_count: 0
    .wavefront_size: 32
    .workgroup_processor_mode: 1
  - .args:
      - .offset:         0
        .size:           120
        .value_kind:     by_value
    .group_segment_fixed_size: 10240
    .kernarg_segment_align: 8
    .kernarg_segment_size: 120
    .language:       OpenCL C
    .language_version:
      - 2
      - 0
    .max_flat_workgroup_size: 256
    .name:           _ZN7rocprim17ROCPRIM_400000_NS6detail17trampoline_kernelINS0_14default_configENS1_27scan_by_key_config_selectorImiEEZZNS1_16scan_by_key_implILNS1_25lookback_scan_determinismE0ELb0ES3_N6thrust23THRUST_200600_302600_NS18transform_iteratorI9row_indexNS9_17counting_iteratorImNS9_11use_defaultESD_SD_EESD_SD_EENS9_6detail15normal_iteratorINS9_10device_ptrIiEEEESK_iNS9_4plusIvEENS9_8equal_toIvEEiEE10hipError_tPvRmT2_T3_T4_T5_mT6_T7_P12ihipStream_tbENKUlT_T0_E_clISt17integral_constantIbLb0EES14_IbLb1EEEEDaS10_S11_EUlS10_E_NS1_11comp_targetILNS1_3genE8ELNS1_11target_archE1030ELNS1_3gpuE2ELNS1_3repE0EEENS1_30default_config_static_selectorELNS0_4arch9wavefront6targetE0EEEvT1_
    .private_segment_fixed_size: 0
    .sgpr_count:     51
    .sgpr_spill_count: 0
    .symbol:         _ZN7rocprim17ROCPRIM_400000_NS6detail17trampoline_kernelINS0_14default_configENS1_27scan_by_key_config_selectorImiEEZZNS1_16scan_by_key_implILNS1_25lookback_scan_determinismE0ELb0ES3_N6thrust23THRUST_200600_302600_NS18transform_iteratorI9row_indexNS9_17counting_iteratorImNS9_11use_defaultESD_SD_EESD_SD_EENS9_6detail15normal_iteratorINS9_10device_ptrIiEEEESK_iNS9_4plusIvEENS9_8equal_toIvEEiEE10hipError_tPvRmT2_T3_T4_T5_mT6_T7_P12ihipStream_tbENKUlT_T0_E_clISt17integral_constantIbLb0EES14_IbLb1EEEEDaS10_S11_EUlS10_E_NS1_11comp_targetILNS1_3genE8ELNS1_11target_archE1030ELNS1_3gpuE2ELNS1_3repE0EEENS1_30default_config_static_selectorELNS0_4arch9wavefront6targetE0EEEvT1_.kd
    .uniform_work_group_size: 1
    .uses_dynamic_stack: false
    .vgpr_count:     37
    .vgpr_spill_count: 0
    .wavefront_size: 32
    .workgroup_processor_mode: 1
  - .args:
      - .offset:         0
        .size:           48
        .value_kind:     by_value
      - .offset:         48
        .size:           8
        .value_kind:     by_value
      - .offset:         56
        .size:           8
        .value_kind:     by_value
    .group_segment_fixed_size: 0
    .kernarg_segment_align: 8
    .kernarg_segment_size: 64
    .language:       OpenCL C
    .language_version:
      - 2
      - 0
    .max_flat_workgroup_size: 256
    .name:           _ZN6thrust23THRUST_200600_302600_NS11hip_rocprim14__parallel_for6kernelILj256ENS1_11__transform17unary_transform_fINS0_20permutation_iteratorINS0_6detail15normal_iteratorINS0_10device_ptrIiEEEENS0_18transform_iteratorI15transpose_indexNS0_17counting_iteratorImNS0_11use_defaultESF_SF_EESF_SF_EEEESB_NS4_14no_stencil_tagENS1_8identityENS4_21always_true_predicateEEExLj1EEEvT0_T1_SO_
    .private_segment_fixed_size: 0
    .sgpr_count:     27
    .sgpr_spill_count: 0
    .symbol:         _ZN6thrust23THRUST_200600_302600_NS11hip_rocprim14__parallel_for6kernelILj256ENS1_11__transform17unary_transform_fINS0_20permutation_iteratorINS0_6detail15normal_iteratorINS0_10device_ptrIiEEEENS0_18transform_iteratorI15transpose_indexNS0_17counting_iteratorImNS0_11use_defaultESF_SF_EESF_SF_EEEESB_NS4_14no_stencil_tagENS1_8identityENS4_21always_true_predicateEEExLj1EEEvT0_T1_SO_.kd
    .uniform_work_group_size: 1
    .uses_dynamic_stack: false
    .vgpr_count:     15
    .vgpr_spill_count: 0
    .wavefront_size: 32
    .workgroup_processor_mode: 1
amdhsa.target:   amdgcn-amd-amdhsa--gfx1030
amdhsa.version:
  - 1
  - 2
...

	.end_amdgpu_metadata
